;; amdgpu-corpus repo=ROCm/rocFFT kind=compiled arch=gfx1201 opt=O3
	.text
	.amdgcn_target "amdgcn-amd-amdhsa--gfx1201"
	.amdhsa_code_object_version 6
	.protected	bluestein_single_fwd_len891_dim1_sp_op_CI_CI ; -- Begin function bluestein_single_fwd_len891_dim1_sp_op_CI_CI
	.globl	bluestein_single_fwd_len891_dim1_sp_op_CI_CI
	.p2align	8
	.type	bluestein_single_fwd_len891_dim1_sp_op_CI_CI,@function
bluestein_single_fwd_len891_dim1_sp_op_CI_CI: ; @bluestein_single_fwd_len891_dim1_sp_op_CI_CI
; %bb.0:
	s_load_b128 s[12:15], s[0:1], 0x28
	v_mul_u32_u24_e32 v1, 0x296, v0
	v_mov_b32_e32 v61, 0
	s_mov_b32 s2, exec_lo
	s_delay_alu instid0(VALU_DEP_2) | instskip(NEXT) | instid1(VALU_DEP_1)
	v_lshrrev_b32_e32 v1, 16, v1
	v_lshl_add_u32 v60, ttmp9, 1, v1
	s_wait_kmcnt 0x0
	s_delay_alu instid0(VALU_DEP_1)
	v_cmpx_gt_u64_e64 s[12:13], v[60:61]
	s_cbranch_execz .LBB0_10
; %bb.1:
	s_clause 0x1
	s_load_b128 s[4:7], s[0:1], 0x18
	s_load_b128 s[8:11], s[0:1], 0x0
	v_mul_lo_u16 v2, 0x63, v1
	s_load_b64 s[0:1], s[0:1], 0x38
	s_delay_alu instid0(VALU_DEP_1)
	v_sub_nc_u16 v24, v0, v2
	s_wait_kmcnt 0x0
	s_load_b128 s[16:19], s[4:5], 0x0
	s_wait_kmcnt 0x0
	v_mad_co_u64_u32 v[2:3], null, s18, v60, 0
	v_and_b32_e32 v81, 0xffff, v24
	s_mul_u64 s[2:3], s[16:17], 0x318
	s_delay_alu instid0(VALU_DEP_2) | instskip(NEXT) | instid1(VALU_DEP_2)
	v_mov_b32_e32 v0, v3
	v_mad_co_u64_u32 v[4:5], null, s16, v81, 0
	v_lshlrev_b32_e32 v44, 3, v81
	s_clause 0x3
	global_load_b64 v[77:78], v44, s[8:9]
	global_load_b64 v[67:68], v44, s[8:9] offset:792
	global_load_b64 v[69:70], v44, s[8:9] offset:1584
	;; [unrolled: 1-line block ×3, first 2 shown]
	v_mov_b32_e32 v3, v5
	v_mad_co_u64_u32 v[5:6], null, s19, v60, v[0:1]
	s_clause 0x2
	global_load_b64 v[61:62], v44, s[8:9] offset:3168
	global_load_b64 v[65:66], v44, s[8:9] offset:3960
	;; [unrolled: 1-line block ×3, first 2 shown]
	v_mad_co_u64_u32 v[6:7], null, s17, v81, v[3:4]
	v_mov_b32_e32 v3, v5
	s_delay_alu instid0(VALU_DEP_2) | instskip(NEXT) | instid1(VALU_DEP_2)
	v_mov_b32_e32 v5, v6
	v_lshlrev_b64_e32 v[2:3], 3, v[2:3]
	s_delay_alu instid0(VALU_DEP_2) | instskip(NEXT) | instid1(VALU_DEP_2)
	v_lshlrev_b64_e32 v[4:5], 3, v[4:5]
	v_add_co_u32 v0, vcc_lo, s14, v2
	s_delay_alu instid0(VALU_DEP_3) | instskip(NEXT) | instid1(VALU_DEP_2)
	v_add_co_ci_u32_e32 v3, vcc_lo, s15, v3, vcc_lo
	v_add_co_u32 v2, vcc_lo, v0, v4
	s_wait_alu 0xfffd
	s_delay_alu instid0(VALU_DEP_2) | instskip(SKIP_1) | instid1(VALU_DEP_3)
	v_add_co_ci_u32_e32 v3, vcc_lo, v3, v5, vcc_lo
	v_and_b32_e32 v0, 1, v1
	v_add_co_u32 v4, vcc_lo, v2, s2
	s_wait_alu 0xfffd
	s_delay_alu instid0(VALU_DEP_3) | instskip(NEXT) | instid1(VALU_DEP_2)
	v_add_co_ci_u32_e32 v5, vcc_lo, s3, v3, vcc_lo
	v_add_co_u32 v6, vcc_lo, v4, s2
	s_wait_alu 0xfffd
	s_delay_alu instid0(VALU_DEP_2)
	v_add_co_ci_u32_e32 v7, vcc_lo, s3, v5, vcc_lo
	s_clause 0x1
	global_load_b64 v[2:3], v[2:3], off
	global_load_b64 v[4:5], v[4:5], off
	v_add_co_u32 v8, vcc_lo, v6, s2
	s_wait_alu 0xfffd
	v_add_co_ci_u32_e32 v9, vcc_lo, s3, v7, vcc_lo
	s_delay_alu instid0(VALU_DEP_2) | instskip(SKIP_1) | instid1(VALU_DEP_2)
	v_add_co_u32 v10, vcc_lo, v8, s2
	s_wait_alu 0xfffd
	v_add_co_ci_u32_e32 v11, vcc_lo, s3, v9, vcc_lo
	s_clause 0x1
	global_load_b64 v[6:7], v[6:7], off
	global_load_b64 v[8:9], v[8:9], off
	v_add_co_u32 v12, vcc_lo, v10, s2
	s_wait_alu 0xfffd
	v_add_co_ci_u32_e32 v13, vcc_lo, s3, v11, vcc_lo
	global_load_b64 v[10:11], v[10:11], off
	v_add_co_u32 v14, vcc_lo, v12, s2
	s_wait_alu 0xfffd
	v_add_co_ci_u32_e32 v15, vcc_lo, s3, v13, vcc_lo
	;; [unrolled: 4-line block ×4, first 2 shown]
	global_load_b64 v[73:74], v44, s[8:9] offset:5544
	global_load_b64 v[16:17], v[16:17], off
	global_load_b64 v[75:76], v44, s[8:9] offset:6336
	global_load_b64 v[18:19], v[18:19], off
	v_cmp_eq_u32_e32 vcc_lo, 1, v0
	s_load_b128 s[4:7], s[6:7], 0x0
	v_add_co_u32 v40, s2, s8, v44
	s_wait_alu 0xf1ff
	v_add_co_ci_u32_e64 v41, null, s9, 0, s2
	v_cndmask_b32_e64 v0, 0, 0x37b, vcc_lo
	v_cmp_gt_u16_e32 vcc_lo, 0x51, v24
	s_wait_loadcnt 0xa
	s_delay_alu instid0(VALU_DEP_2) | instskip(NEXT) | instid1(VALU_DEP_1)
	v_dual_mul_f32 v20, v3, v78 :: v_dual_lshlrev_b32 v83, 3, v0
	v_add_nc_u32_e32 v82, v83, v44
	s_wait_loadcnt 0x9
	v_dual_mul_f32 v22, v5, v68 :: v_dual_mul_f32 v21, v2, v78
	s_delay_alu instid0(VALU_DEP_2) | instskip(SKIP_1) | instid1(VALU_DEP_3)
	v_dual_fmac_f32 v20, v2, v77 :: v_dual_add_nc_u32 v25, 0x400, v82
	v_add_nc_u32_e32 v0, 0x1000, v82
	v_fmac_f32_e32 v22, v4, v67
	s_delay_alu instid0(VALU_DEP_4)
	v_fma_f32 v21, v3, v77, -v21
	v_mul_f32_e32 v3, v4, v68
	v_add_nc_u32_e32 v1, 0x800, v82
	s_wait_loadcnt 0x8
	v_mul_f32_e32 v2, v7, v70
	v_mul_f32_e32 v26, v6, v70
	s_wait_loadcnt 0x7
	v_mul_f32_e32 v4, v9, v72
	v_fma_f32 v23, v5, v67, -v3
	v_dual_mul_f32 v5, v8, v72 :: v_dual_fmac_f32 v2, v6, v69
	s_wait_loadcnt 0x6
	v_mul_f32_e32 v6, v11, v62
	v_fma_f32 v3, v7, v69, -v26
	v_dual_mul_f32 v7, v10, v62 :: v_dual_fmac_f32 v4, v8, v71
	v_fma_f32 v5, v9, v71, -v5
	s_wait_loadcnt 0x5
	v_mul_f32_e32 v8, v13, v66
	v_dual_mul_f32 v9, v12, v66 :: v_dual_fmac_f32 v6, v10, v61
	s_wait_loadcnt 0x4
	v_mul_f32_e32 v10, v15, v64
	v_fma_f32 v7, v11, v61, -v7
	v_fmac_f32_e32 v8, v12, v65
	v_fma_f32 v9, v13, v65, -v9
	s_wait_loadcnt 0x2
	v_dual_mul_f32 v11, v14, v64 :: v_dual_mul_f32 v12, v17, v74
	v_dual_mul_f32 v13, v16, v74 :: v_dual_fmac_f32 v10, v14, v63
	s_wait_loadcnt 0x0
	v_mul_f32_e32 v14, v19, v76
	v_mul_f32_e32 v26, v18, v76
	v_fma_f32 v11, v15, v63, -v11
	v_fmac_f32_e32 v12, v16, v73
	v_fma_f32 v13, v17, v73, -v13
	v_fmac_f32_e32 v14, v18, v75
	v_fma_f32 v15, v19, v75, -v26
	ds_store_2addr_b64 v82, v[20:21], v[22:23] offset1:99
	ds_store_2addr_b64 v25, v[2:3], v[4:5] offset0:70 offset1:169
	ds_store_2addr_b64 v1, v[6:7], v[8:9] offset0:140 offset1:239
	;; [unrolled: 1-line block ×3, first 2 shown]
	ds_store_b64 v82, v[14:15] offset:6336
	global_wb scope:SCOPE_SE
	s_wait_dscnt 0x0
	s_wait_kmcnt 0x0
	s_barrier_signal -1
	s_barrier_wait -1
	global_inv scope:SCOPE_SE
	ds_load_2addr_b64 v[2:5], v82 offset1:99
	ds_load_b64 v[18:19], v82 offset:6336
	ds_load_2addr_b64 v[6:9], v25 offset0:70 offset1:169
	ds_load_2addr_b64 v[10:13], v0 offset0:82 offset1:181
	v_mul_lo_u16 v14, v24, 9
	s_wait_dscnt 0x2
	v_add_f32_e32 v21, v5, v19
	s_delay_alu instid0(VALU_DEP_2)
	v_dual_sub_f32 v5, v5, v19 :: v_dual_and_b32 v20, 0xffff, v14
	ds_load_2addr_b64 v[14:17], v1 offset0:140 offset1:239
	s_wait_dscnt 0x1
	v_add_f32_e32 v25, v9, v11
	v_dual_sub_f32 v9, v9, v11 :: v_dual_add_f32 v22, v6, v12
	v_dual_add_f32 v23, v7, v13 :: v_dual_add_f32 v24, v8, v10
	v_dual_sub_f32 v6, v6, v12 :: v_dual_sub_f32 v7, v7, v13
	v_mul_f32_e32 v19, 0x3f248dbb, v5
	s_delay_alu instid0(VALU_DEP_3) | instskip(SKIP_2) | instid1(VALU_DEP_4)
	v_dual_fmamk_f32 v43, v23, 0x3f441b7d, v3 :: v_dual_sub_f32 v8, v8, v10
	v_fmamk_f32 v29, v21, 0x3f441b7d, v3
	v_add_f32_e32 v27, v25, v3
	v_fmac_f32_e32 v19, 0x3f7c1c5c, v7
	v_add_f32_e32 v37, v23, v21
	global_wb scope:SCOPE_SE
	s_wait_dscnt 0x0
	v_fmac_f32_e32 v29, 0x3e31d0d4, v23
	s_barrier_signal -1
	v_fmac_f32_e32 v19, 0x3f5db3d7, v9
	s_barrier_wait -1
	v_dual_sub_f32 v11, v15, v17 :: v_dual_sub_f32 v10, v14, v16
	v_add_f32_e32 v13, v15, v17
	v_fmac_f32_e32 v29, -0.5, v25
	global_inv scope:SCOPE_SE
	v_add_f32_e32 v35, v11, v5
	v_lshl_add_u32 v86, v20, 3, v83
	v_add_f32_e32 v20, v4, v18
	v_add_f32_e32 v12, v14, v16
	v_dual_sub_f32 v4, v4, v18 :: v_dual_mul_f32 v39, 0x3f7c1c5c, v11
	v_mul_f32_e32 v33, 0xbf248dbb, v10
	s_delay_alu instid0(VALU_DEP_4) | instskip(NEXT) | instid1(VALU_DEP_4)
	v_dual_fmamk_f32 v28, v20, 0x3f441b7d, v2 :: v_dual_sub_f32 v35, v35, v7
	v_fmamk_f32 v31, v12, 0x3f441b7d, v2
	s_delay_alu instid0(VALU_DEP_4)
	v_mul_f32_e32 v18, 0x3f248dbb, v4
	v_dual_add_f32 v34, v10, v4 :: v_dual_fmac_f32 v43, 0x3e31d0d4, v13
	v_dual_add_f32 v26, v24, v2 :: v_dual_fmac_f32 v33, 0x3f7c1c5c, v4
	v_add_f32_e32 v36, v22, v20
	v_dual_fmac_f32 v28, 0x3e31d0d4, v22 :: v_dual_fmac_f32 v31, 0x3e31d0d4, v20
	v_mul_f32_e32 v38, 0x3f7c1c5c, v10
	s_delay_alu instid0(VALU_DEP_3) | instskip(SKIP_1) | instid1(VALU_DEP_4)
	v_dual_mul_f32 v30, 0xbf248dbb, v11 :: v_dual_add_f32 v45, v12, v36
	v_dual_sub_f32 v34, v34, v6 :: v_dual_fmac_f32 v33, 0xbf5db3d7, v8
	v_fmac_f32_e32 v31, -0.5, v24
	s_delay_alu instid0(VALU_DEP_4)
	v_fma_f32 v47, 0xbf248dbb, v6, -v38
	v_add_f32_e32 v46, v13, v37
	v_dual_add_f32 v37, v25, v37 :: v_dual_fmac_f32 v18, 0x3f7c1c5c, v6
	v_fmac_f32_e32 v43, -0.5, v25
	v_fma_f32 v39, 0xbf248dbb, v7, -v39
	v_add_f32_e32 v36, v24, v36
	v_dual_fmac_f32 v26, -0.5, v45 :: v_dual_fmac_f32 v33, 0x3eaf1d44, v6
	v_fmac_f32_e32 v18, 0x3f5db3d7, v8
	v_fmac_f32_e32 v47, 0x3f5db3d7, v8
	v_dual_fmamk_f32 v42, v22, 0x3f441b7d, v2 :: v_dual_fmac_f32 v27, -0.5, v46
	v_dual_fmac_f32 v39, 0x3f5db3d7, v9 :: v_dual_add_f32 v8, v14, v36
	v_fmac_f32_e32 v29, 0xbf708fb2, v13
	s_delay_alu instid0(VALU_DEP_4)
	v_dual_fmac_f32 v18, 0x3eaf1d44, v10 :: v_dual_fmac_f32 v47, 0x3eaf1d44, v4
	v_fmac_f32_e32 v30, 0x3f7c1c5c, v5
	v_fmamk_f32 v32, v13, 0x3f441b7d, v3
	v_fmac_f32_e32 v27, 0xbf5db3d7, v34
	v_fmac_f32_e32 v39, 0x3eaf1d44, v5
	;; [unrolled: 1-line block ×4, first 2 shown]
	v_dual_add_f32 v9, v15, v37 :: v_dual_fmac_f32 v42, 0x3e31d0d4, v12
	v_fmac_f32_e32 v32, 0x3e31d0d4, v21
	v_dual_fmac_f32 v28, -0.5, v24 :: v_dual_fmac_f32 v19, 0x3eaf1d44, v11
	s_delay_alu instid0(VALU_DEP_3) | instskip(NEXT) | instid1(VALU_DEP_4)
	v_dual_fmac_f32 v30, 0x3eaf1d44, v7 :: v_dual_add_f32 v5, v17, v9
	v_fmac_f32_e32 v42, -0.5, v24
	s_delay_alu instid0(VALU_DEP_4) | instskip(NEXT) | instid1(VALU_DEP_4)
	v_dual_fmac_f32 v32, -0.5, v25 :: v_dual_fmac_f32 v31, 0xbf708fb2, v22
	v_fmac_f32_e32 v28, 0xbf708fb2, v12
	s_delay_alu instid0(VALU_DEP_4) | instskip(NEXT) | instid1(VALU_DEP_3)
	v_dual_mul_f32 v38, 0x3f5db3d7, v34 :: v_dual_add_f32 v21, v5, v3
	v_fmac_f32_e32 v32, 0xbf708fb2, v23
	v_fmac_f32_e32 v42, 0xbf708fb2, v20
	v_mul_f32_e32 v48, 0x3f5db3d7, v35
	v_fmac_f32_e32 v26, 0x3f5db3d7, v35
	v_add_f32_e32 v4, v16, v8
	v_dual_add_f32 v22, v19, v28 :: v_dual_sub_f32 v23, v29, v18
	v_dual_add_f32 v24, v31, v30 :: v_dual_sub_f32 v25, v32, v33
	v_add_f32_e32 v28, v39, v42
	v_sub_f32_e32 v29, v43, v47
	v_fma_f32 v36, -2.0, v48, v26
	v_fma_f32 v37, 2.0, v38, v27
	v_add_f32_e32 v20, v4, v2
	v_fma_f32 v32, -2.0, v19, v22
	v_fma_f32 v38, -2.0, v30, v24
	;; [unrolled: 1-line block ×3, first 2 shown]
	v_fma_f32 v31, 2.0, v47, v29
	v_fma_f32 v39, 2.0, v33, v25
	;; [unrolled: 1-line block ×3, first 2 shown]
	ds_store_2addr_b64 v86, v[20:21], v[22:23] offset1:1
	ds_store_2addr_b64 v86, v[24:25], v[26:27] offset0:2 offset1:3
	ds_store_2addr_b64 v86, v[28:29], v[30:31] offset0:4 offset1:5
	;; [unrolled: 1-line block ×3, first 2 shown]
	ds_store_b64 v86, v[32:33] offset:64
	global_wb scope:SCOPE_SE
	s_wait_dscnt 0x0
	s_barrier_signal -1
	s_barrier_wait -1
	global_inv scope:SCOPE_SE
                                        ; implicit-def: $vgpr42
	s_and_saveexec_b32 s2, vcc_lo
	s_cbranch_execz .LBB0_3
; %bb.2:
	v_add_nc_u32_e32 v2, 0xc00, v82
	ds_load_2addr_b64 v[20:23], v82 offset1:81
	ds_load_2addr_b64 v[24:27], v82 offset0:162 offset1:243
	ds_load_2addr_b64 v[28:31], v1 offset0:68 offset1:149
	;; [unrolled: 1-line block ×4, first 2 shown]
	ds_load_b64 v[42:43], v82 offset:6480
.LBB0_3:
	s_wait_alu 0xfffe
	s_or_b32 exec_lo, exec_lo, s2
	v_and_b32_e32 v0, 0xff, v81
	s_delay_alu instid0(VALU_DEP_1) | instskip(NEXT) | instid1(VALU_DEP_1)
	v_mul_lo_u16 v0, v0, 57
	v_lshrrev_b16 v85, 9, v0
	s_delay_alu instid0(VALU_DEP_1) | instskip(SKIP_1) | instid1(VALU_DEP_2)
	v_mul_lo_u16 v0, v85, 9
	v_and_b32_e32 v85, 0xffff, v85
	v_sub_nc_u16 v0, v81, v0
	s_delay_alu instid0(VALU_DEP_1) | instskip(NEXT) | instid1(VALU_DEP_1)
	v_and_b32_e32 v84, 0xff, v0
	v_mul_u32_u24_e32 v0, 10, v84
	s_delay_alu instid0(VALU_DEP_1)
	v_lshlrev_b32_e32 v16, 3, v0
	s_clause 0x4
	global_load_b128 v[12:15], v16, s[10:11]
	global_load_b128 v[8:11], v16, s[10:11] offset:16
	global_load_b128 v[0:3], v16, s[10:11] offset:32
	;; [unrolled: 1-line block ×4, first 2 shown]
	global_wb scope:SCOPE_SE
	s_wait_loadcnt_dscnt 0x0
	s_barrier_signal -1
	s_barrier_wait -1
	global_inv scope:SCOPE_SE
	v_dual_mul_f32 v56, v22, v13 :: v_dual_mul_f32 v79, v29, v11
	v_mul_f32_e32 v53, v23, v13
	v_dual_mul_f32 v52, v26, v9 :: v_dual_mul_f32 v51, v28, v11
	v_dual_mul_f32 v50, v30, v1 :: v_dual_mul_f32 v47, v32, v7
	;; [unrolled: 1-line block ×3, first 2 shown]
	v_mul_f32_e32 v92, v43, v19
	v_dual_mul_f32 v45, v42, v19 :: v_dual_fmac_f32 v56, v23, v12
	v_mul_f32_e32 v90, v33, v7
	v_dual_mul_f32 v54, v24, v15 :: v_dual_mul_f32 v89, v39, v5
	v_mul_f32_e32 v57, v27, v9
	v_dual_mul_f32 v80, v31, v1 :: v_dual_mul_f32 v49, v36, v3
	v_dual_mul_f32 v48, v38, v5 :: v_dual_fmac_f32 v51, v29, v10
	v_mul_f32_e32 v46, v34, v17
	v_fma_f32 v87, v22, v12, -v53
	s_delay_alu instid0(VALU_DEP_4)
	v_fmac_f32_e32 v49, v37, v2
	v_fma_f32 v53, v36, v2, -v88
	v_fmac_f32_e32 v45, v43, v18
	v_fmac_f32_e32 v52, v27, v8
	v_fma_f32 v36, v32, v6, -v90
	v_fmac_f32_e32 v47, v33, v6
	v_fma_f32 v32, v42, v18, -v92
	v_sub_f32_e32 v95, v56, v45
	v_mul_f32_e32 v55, v25, v15
	v_fmac_f32_e32 v54, v25, v14
	v_fma_f32 v58, v26, v8, -v57
	v_sub_f32_e32 v101, v87, v32
	v_fma_f32 v57, v28, v10, -v79
	v_fma_f32 v37, v38, v4, -v89
	v_dual_fmac_f32 v46, v35, v16 :: v_dual_sub_f32 v99, v52, v47
	v_fmac_f32_e32 v48, v39, v4
	v_fma_f32 v59, v24, v14, -v55
	s_delay_alu instid0(VALU_DEP_3) | instskip(SKIP_4) | instid1(VALU_DEP_4)
	v_dual_fmac_f32 v50, v31, v0 :: v_dual_add_f32 v25, v54, v46
	v_fma_f32 v33, v34, v16, -v91
	v_sub_f32_e32 v97, v54, v46
	v_dual_sub_f32 v109, v57, v37 :: v_dual_sub_f32 v94, v51, v48
	v_dual_add_f32 v22, v87, v32 :: v_dual_add_f32 v27, v57, v37
	v_dual_sub_f32 v106, v59, v33 :: v_dual_mul_f32 v103, 0xbf68dda4, v95
	s_delay_alu instid0(VALU_DEP_3) | instskip(SKIP_3) | instid1(VALU_DEP_4)
	v_dual_sub_f32 v96, v50, v49 :: v_dual_mul_f32 v35, 0xbf4178ce, v94
	v_dual_add_f32 v31, v50, v49 :: v_dual_mul_f32 v92, 0xbf0a6770, v95
	v_fma_f32 v55, v30, v0, -v80
	v_dual_add_f32 v23, v59, v33 :: v_dual_add_f32 v26, v58, v36
	v_fmamk_f32 v119, v27, 0xbf27a4f4, v35
	v_fmamk_f32 v79, v22, 0x3ed4b147, v103
	v_mul_f32_e32 v108, 0xbf4178ce, v106
	v_fmamk_f32 v42, v22, 0x3f575c64, v92
	v_dual_add_f32 v24, v56, v45 :: v_dual_sub_f32 v105, v58, v36
	s_delay_alu instid0(VALU_DEP_4) | instskip(NEXT) | instid1(VALU_DEP_4)
	v_add_f32_e32 v79, v20, v79
	v_fma_f32 v121, 0xbf27a4f4, v25, -v108
	v_mul_f32_e32 v89, 0xbf68dda4, v97
	v_dual_sub_f32 v110, v55, v53 :: v_dual_mul_f32 v39, 0xbf7d64f0, v99
	v_dual_mul_f32 v93, 0xbf0a6770, v101 :: v_dual_add_f32 v42, v20, v42
	s_delay_alu instid0(VALU_DEP_3) | instskip(SKIP_2) | instid1(VALU_DEP_4)
	v_fmamk_f32 v80, v23, 0x3ed4b147, v89
	v_mul_f32_e32 v107, 0xbf68dda4, v101
	v_dual_add_f32 v30, v55, v53 :: v_dual_mul_f32 v91, 0xbf68dda4, v106
	v_fma_f32 v43, 0x3f575c64, v24, -v93
	v_fmamk_f32 v116, v26, 0xbe11bafb, v39
	v_add_f32_e32 v42, v80, v42
	v_fma_f32 v115, 0x3ed4b147, v24, -v107
	v_dual_add_f32 v28, v52, v47 :: v_dual_add_f32 v29, v51, v48
	v_dual_mul_f32 v104, 0xbf4178ce, v97 :: v_dual_add_f32 v43, v21, v43
	s_delay_alu instid0(VALU_DEP_3) | instskip(SKIP_3) | instid1(VALU_DEP_4)
	v_dual_mul_f32 v90, 0xbf7d64f0, v105 :: v_dual_add_f32 v115, v21, v115
	v_dual_mul_f32 v111, 0x3f0a6770, v96 :: v_dual_add_f32 v42, v116, v42
	v_fma_f32 v114, 0x3ed4b147, v25, -v91
	v_mul_f32_e32 v102, 0x3e903f40, v105
	v_add_f32_e32 v80, v121, v115
	v_fma_f32 v117, 0xbe11bafb, v28, -v90
	s_delay_alu instid0(VALU_DEP_4)
	v_dual_add_f32 v42, v119, v42 :: v_dual_add_f32 v43, v114, v43
	v_mul_f32_e32 v112, 0x3f7d64f0, v109
	v_fma_f32 v125, 0xbf75a155, v28, -v102
	v_mul_f32_e32 v113, 0x3f0a6770, v110
	v_fmamk_f32 v118, v23, 0xbf27a4f4, v104
	v_mul_f32_e32 v88, 0xbf4178ce, v109
	v_fma_f32 v127, 0xbe11bafb, v29, -v112
	v_add_f32_e32 v80, v125, v80
	v_mul_f32_e32 v100, 0x3e903f40, v99
	v_dual_mul_f32 v98, 0x3f7d64f0, v94 :: v_dual_add_f32 v43, v117, v43
	v_add_f32_e32 v79, v118, v79
	s_delay_alu instid0(VALU_DEP_3) | instskip(SKIP_3) | instid1(VALU_DEP_4)
	v_dual_add_f32 v117, v127, v80 :: v_dual_fmamk_f32 v124, v26, 0xbf75a155, v100
	v_mul_f32_e32 v34, 0xbe903f40, v96
	v_fma_f32 v120, 0xbf27a4f4, v29, -v88
	v_mul_f32_e32 v38, 0xbe903f40, v110
	v_dual_fmamk_f32 v126, v27, 0xbe11bafb, v98 :: v_dual_add_f32 v79, v124, v79
	s_delay_alu instid0(VALU_DEP_3) | instskip(NEXT) | instid1(VALU_DEP_3)
	v_dual_fmamk_f32 v122, v30, 0xbf75a155, v34 :: v_dual_add_f32 v43, v120, v43
	v_fma_f32 v123, 0xbf75a155, v31, -v38
	v_fmamk_f32 v114, v30, 0x3f575c64, v111
	v_fma_f32 v115, 0x3f575c64, v31, -v113
	v_add_f32_e32 v116, v126, v79
	s_delay_alu instid0(VALU_DEP_4) | instskip(NEXT) | instid1(VALU_DEP_2)
	v_dual_add_f32 v79, v122, v42 :: v_dual_add_f32 v80, v123, v43
	v_dual_add_f32 v43, v115, v117 :: v_dual_add_f32 v42, v114, v116
	s_and_saveexec_b32 s2, vcc_lo
	s_cbranch_execz .LBB0_5
; %bb.4:
	v_mul_f32_e32 v123, 0xbe903f40, v101
	v_mul_f32_e32 v151, 0x3f68dda4, v110
	v_dual_mul_f32 v132, 0xbf4178ce, v105 :: v_dual_mul_f32 v143, 0xbf4178ce, v95
	v_mul_f32_e32 v134, 0x3f0a6770, v97
	s_delay_alu instid0(VALU_DEP_4) | instskip(NEXT) | instid1(VALU_DEP_4)
	v_dual_fmamk_f32 v114, v24, 0xbf75a155, v123 :: v_dual_mul_f32 v133, 0xbf75a155, v28
	v_fmamk_f32 v153, v31, 0x3ed4b147, v151
	v_mul_f32_e32 v128, 0x3f0a6770, v106
	v_fma_f32 v146, 0xbf27a4f4, v22, -v143
	s_delay_alu instid0(VALU_DEP_4) | instskip(SKIP_2) | instid1(VALU_DEP_4)
	v_add_f32_e32 v114, v21, v114
	v_fma_f32 v117, 0x3f575c64, v23, -v134
	v_dual_mul_f32 v135, 0x3f68dda4, v109 :: v_dual_mul_f32 v138, 0x3f68dda4, v94
	v_dual_fmamk_f32 v115, v25, 0x3f575c64, v128 :: v_dual_add_f32 v146, v20, v146
	v_mul_f32_e32 v129, 0xbe11bafb, v28
	v_dual_mul_f32 v136, 0xbf4178ce, v99 :: v_dual_mul_f32 v139, 0xbf4178ce, v101
	s_delay_alu instid0(VALU_DEP_3) | instskip(SKIP_3) | instid1(VALU_DEP_4)
	v_dual_add_f32 v114, v115, v114 :: v_dual_fmamk_f32 v115, v28, 0xbf27a4f4, v132
	v_mul_f32_e32 v131, 0xbe903f40, v95
	v_mul_f32_e32 v122, 0x3ed4b147, v23
	v_dual_mul_f32 v142, 0xbf7d64f0, v96 :: v_dual_mul_f32 v101, 0xbf7d64f0, v101
	v_add_f32_e32 v114, v115, v114
	s_delay_alu instid0(VALU_DEP_4) | instskip(SKIP_3) | instid1(VALU_DEP_4)
	v_fma_f32 v116, 0xbf75a155, v22, -v131
	v_mul_f32_e32 v127, 0xbe11bafb, v26
	v_fmamk_f32 v115, v29, 0x3ed4b147, v135
	v_fma_f32 v145, 0xbe11bafb, v30, -v142
	v_dual_mul_f32 v141, 0x3f7d64f0, v106 :: v_dual_add_f32 v116, v20, v116
	v_mul_f32_e32 v144, 0xbf0a6770, v105
	s_delay_alu instid0(VALU_DEP_4)
	v_add_f32_e32 v114, v115, v114
	v_mul_f32_e32 v150, 0xbf0a6770, v99
	v_mul_f32_e32 v152, 0xbe903f40, v94
	v_add_f32_e32 v116, v117, v116
	v_fma_f32 v117, 0xbf27a4f4, v26, -v136
	v_mul_f32_e32 v137, 0xbf7d64f0, v110
	v_dual_mul_f32 v106, 0x3e903f40, v106 :: v_dual_mul_f32 v155, 0x3e903f40, v97
	v_dual_mul_f32 v120, 0x3ed4b147, v22 :: v_dual_mul_f32 v121, 0x3ed4b147, v24
	s_delay_alu instid0(VALU_DEP_4)
	v_add_f32_e32 v116, v117, v116
	v_fma_f32 v117, 0x3ed4b147, v27, -v138
	v_fmamk_f32 v115, v31, 0xbe11bafb, v137
	v_mul_f32_e32 v147, 0x3f7d64f0, v97
	v_fma_f32 v156, 0xbf75a155, v23, -v155
	v_dual_mul_f32 v125, 0xbf27a4f4, v23 :: v_dual_mul_f32 v126, 0xbf27a4f4, v25
	v_add_f32_e32 v116, v117, v116
	v_fmamk_f32 v117, v25, 0xbe11bafb, v141
	v_dual_mul_f32 v124, 0x3ed4b147, v25 :: v_dual_add_f32 v115, v115, v114
	v_fmamk_f32 v114, v24, 0xbf27a4f4, v139
	v_fma_f32 v149, 0xbe11bafb, v23, -v147
	v_mul_f32_e32 v105, 0x3f68dda4, v105
	v_dual_mul_f32 v110, 0xbf4178ce, v110 :: v_dual_add_f32 v107, v107, v121
	s_delay_alu instid0(VALU_DEP_4) | instskip(NEXT) | instid1(VALU_DEP_3)
	v_add_f32_e32 v114, v21, v114
	v_dual_add_f32 v146, v149, v146 :: v_dual_fmamk_f32 v97, v28, 0x3ed4b147, v105
	v_mul_f32_e32 v148, 0xbe903f40, v109
	s_delay_alu instid0(VALU_DEP_3) | instskip(SKIP_4) | instid1(VALU_DEP_4)
	v_dual_mul_f32 v109, 0xbf0a6770, v109 :: v_dual_add_f32 v114, v117, v114
	v_fmamk_f32 v117, v28, 0x3f575c64, v144
	v_fma_f32 v149, 0x3f575c64, v26, -v150
	v_mul_f32_e32 v130, 0xbf75a155, v26
	v_dual_add_f32 v56, v21, v56 :: v_dual_sub_f32 v89, v122, v89
	v_add_f32_e32 v114, v117, v114
	v_fmamk_f32 v117, v29, 0xbf75a155, v148
	v_add_f32_e32 v146, v149, v146
	v_fma_f32 v149, 0xbf75a155, v27, -v152
	v_mul_f32_e32 v140, 0xbf27a4f4, v27
	v_dual_add_f32 v54, v56, v54 :: v_dual_sub_f32 v39, v127, v39
	v_add_f32_e32 v117, v117, v114
	v_add_f32_e32 v114, v145, v116
	;; [unrolled: 1-line block ×3, first 2 shown]
	v_mul_f32_e32 v149, 0xbf7d64f0, v95
	v_fmamk_f32 v116, v24, 0xbe11bafb, v101
	v_dual_mul_f32 v146, 0x3f68dda4, v96 :: v_dual_mul_f32 v99, 0x3f68dda4, v99
	v_add_f32_e32 v117, v153, v117
	s_delay_alu instid0(VALU_DEP_4) | instskip(NEXT) | instid1(VALU_DEP_4)
	v_fma_f32 v154, 0xbe11bafb, v22, -v149
	v_add_f32_e32 v95, v21, v116
	s_delay_alu instid0(VALU_DEP_4) | instskip(SKIP_1) | instid1(VALU_DEP_4)
	v_fma_f32 v153, 0x3ed4b147, v30, -v146
	v_dual_sub_f32 v103, v120, v103 :: v_dual_fmamk_f32 v120, v31, 0xbf27a4f4, v110
	v_add_f32_e32 v154, v20, v154
	v_fmamk_f32 v116, v25, 0xbf75a155, v106
	v_add_f32_e32 v108, v108, v126
	v_dual_mul_f32 v126, 0x3f575c64, v30 :: v_dual_add_f32 v107, v21, v107
	v_dual_mul_f32 v118, 0x3f575c64, v22 :: v_dual_mul_f32 v119, 0x3f575c64, v24
	s_delay_alu instid0(VALU_DEP_4) | instskip(SKIP_2) | instid1(VALU_DEP_3)
	v_dual_add_f32 v95, v116, v95 :: v_dual_add_f32 v116, v153, v145
	v_add_f32_e32 v145, v156, v154
	v_fma_f32 v153, 0x3ed4b147, v26, -v99
	v_dual_mul_f32 v154, 0xbf27a4f4, v29 :: v_dual_add_f32 v95, v97, v95
	v_fmamk_f32 v97, v29, 0x3f575c64, v109
	s_delay_alu instid0(VALU_DEP_3) | instskip(SKIP_1) | instid1(VALU_DEP_3)
	v_dual_mul_f32 v156, 0xbe11bafb, v27 :: v_dual_add_f32 v145, v153, v145
	v_dual_mul_f32 v153, 0xbf75a155, v30 :: v_dual_sub_f32 v104, v125, v104
	v_add_f32_e32 v95, v97, v95
	v_mul_f32_e32 v97, 0xbe11bafb, v29
	v_dual_mul_f32 v121, 0xbf75a155, v31 :: v_dual_add_f32 v102, v102, v133
	v_add_f32_e32 v103, v20, v103
	s_delay_alu instid0(VALU_DEP_4) | instskip(SKIP_2) | instid1(VALU_DEP_4)
	v_dual_add_f32 v95, v120, v95 :: v_dual_mul_f32 v120, 0xbf0a6770, v94
	v_dual_add_f32 v94, v108, v107 :: v_dual_mul_f32 v107, 0xbf4178ce, v96
	;; [unrolled: 1-line block ×3, first 2 shown]
	v_dual_sub_f32 v100, v130, v100 :: v_dual_add_f32 v103, v104, v103
	s_delay_alu instid0(VALU_DEP_3)
	v_add_f32_e32 v94, v102, v94
	v_fma_f32 v104, 0x3f575c64, v27, -v120
	v_dual_add_f32 v96, v112, v97 :: v_dual_add_f32 v93, v93, v119
	v_add_f32_e32 v51, v52, v51
	v_sub_f32_e32 v98, v156, v98
	v_fma_f32 v102, 0xbf27a4f4, v30, -v107
	v_add_f32_e32 v97, v100, v103
	v_dual_add_f32 v96, v96, v94 :: v_dual_add_f32 v93, v21, v93
	v_add_f32_e32 v103, v113, v125
	v_add_f32_e32 v100, v104, v145
	;; [unrolled: 1-line block ×5, first 2 shown]
	v_sub_f32_e32 v92, v118, v92
	v_sub_f32_e32 v104, v126, v111
	v_add_f32_e32 v94, v102, v100
	v_dual_add_f32 v98, v98, v97 :: v_dual_add_f32 v87, v91, v124
	v_dual_add_f32 v49, v50, v49 :: v_dual_add_f32 v54, v56, v59
	v_add_f32_e32 v97, v103, v96
	v_add_f32_e32 v91, v20, v92
	s_delay_alu instid0(VALU_DEP_4) | instskip(SKIP_1) | instid1(VALU_DEP_3)
	v_dual_add_f32 v96, v104, v98 :: v_dual_add_f32 v59, v90, v129
	v_dual_add_f32 v56, v87, v93 :: v_dual_sub_f32 v35, v140, v35
	v_dual_add_f32 v52, v54, v58 :: v_dual_add_f32 v87, v89, v91
	v_add_f32_e32 v48, v49, v48
	s_delay_alu instid0(VALU_DEP_3) | instskip(NEXT) | instid1(VALU_DEP_3)
	v_dual_add_f32 v54, v59, v56 :: v_dual_fmac_f32 v131, 0xbf75a155, v22
	v_add_f32_e32 v51, v52, v57
	s_delay_alu instid0(VALU_DEP_4) | instskip(SKIP_2) | instid1(VALU_DEP_4)
	v_dual_add_f32 v39, v39, v87 :: v_dual_add_f32 v56, v88, v154
	v_sub_f32_e32 v34, v153, v34
	v_fmac_f32_e32 v134, 0x3f575c64, v23
	v_add_f32_e32 v50, v51, v55
	s_delay_alu instid0(VALU_DEP_4)
	v_add_f32_e32 v39, v35, v39
	v_fmac_f32_e32 v152, 0xbf75a155, v27
	v_fmac_f32_e32 v142, 0xbe11bafb, v30
	;; [unrolled: 1-line block ×3, first 2 shown]
	v_dual_add_f32 v49, v50, v53 :: v_dual_add_f32 v52, v56, v54
	v_fmac_f32_e32 v147, 0xbe11bafb, v23
	v_fmac_f32_e32 v146, 0x3ed4b147, v30
	;; [unrolled: 1-line block ×3, first 2 shown]
	s_delay_alu instid0(VALU_DEP_4) | instskip(SKIP_3) | instid1(VALU_DEP_4)
	v_add_f32_e32 v37, v49, v37
	v_fma_f32 v23, 0x3ed4b147, v28, -v105
	v_fmac_f32_e32 v149, 0xbe11bafb, v22
	v_fmac_f32_e32 v99, 0x3ed4b147, v26
	v_dual_fmac_f32 v107, 0xbf27a4f4, v30 :: v_dual_add_f32 v36, v37, v36
	v_add_f32_e32 v34, v34, v39
	v_add_f32_e32 v39, v48, v47
	;; [unrolled: 1-line block ×3, first 2 shown]
	v_fma_f32 v38, 0xbf75a155, v24, -v123
	v_fma_f32 v47, 0x3f575c64, v25, -v128
	s_delay_alu instid0(VALU_DEP_4) | instskip(NEXT) | instid1(VALU_DEP_1)
	v_add_f32_e32 v39, v39, v46
	v_dual_add_f32 v38, v21, v38 :: v_dual_add_f32 v37, v39, v45
	v_fma_f32 v45, 0x3ed4b147, v29, -v135
	s_delay_alu instid0(VALU_DEP_2) | instskip(SKIP_1) | instid1(VALU_DEP_1)
	v_add_f32_e32 v38, v47, v38
	v_fma_f32 v47, 0xbf27a4f4, v28, -v132
	v_add_f32_e32 v38, v47, v38
	v_add_f32_e32 v46, v20, v131
	s_delay_alu instid0(VALU_DEP_1) | instskip(SKIP_3) | instid1(VALU_DEP_3)
	v_add_f32_e32 v39, v134, v46
	v_add_f32_e32 v33, v36, v33
	v_fma_f32 v46, 0xbf27a4f4, v24, -v139
	v_fma_f32 v24, 0xbe11bafb, v24, -v101
	v_add_f32_e32 v36, v33, v32
	v_add_f32_e32 v33, v45, v38
	s_delay_alu instid0(VALU_DEP_4) | instskip(SKIP_3) | instid1(VALU_DEP_3)
	v_add_f32_e32 v38, v21, v46
	v_fma_f32 v45, 0xbe11bafb, v31, -v137
	v_add_f32_e32 v21, v21, v24
	v_fma_f32 v24, 0xbf75a155, v25, -v106
	v_dual_fmac_f32 v138, 0x3ed4b147, v27 :: v_dual_add_f32 v33, v45, v33
	v_add_f32_e32 v45, v20, v143
	s_delay_alu instid0(VALU_DEP_3) | instskip(SKIP_2) | instid1(VALU_DEP_4)
	v_dual_add_f32 v21, v24, v21 :: v_dual_fmac_f32 v136, 0xbf27a4f4, v26
	v_fmac_f32_e32 v150, 0x3f575c64, v26
	v_fma_f32 v26, 0x3f575c64, v29, -v109
	v_add_f32_e32 v45, v147, v45
	s_delay_alu instid0(VALU_DEP_4) | instskip(SKIP_2) | instid1(VALU_DEP_4)
	v_dual_add_f32 v21, v23, v21 :: v_dual_add_f32 v32, v136, v39
	v_fma_f32 v39, 0xbe11bafb, v25, -v141
	v_mul_u32_u24_e32 v23, 0x63, v85
	v_add_f32_e32 v25, v150, v45
	v_add_f32_e32 v20, v20, v149
	v_add_f32_e32 v32, v138, v32
	v_add_f32_e32 v38, v39, v38
	v_fma_f32 v39, 0x3f575c64, v28, -v144
	v_add_nc_u32_e32 v23, v23, v84
	v_add_f32_e32 v20, v155, v20
	v_fma_f32 v24, 0x3ed4b147, v31, -v151
	v_add_f32_e32 v26, v26, v21
	v_add_f32_e32 v38, v39, v38
	v_fma_f32 v39, 0xbf75a155, v29, -v148
	v_add_f32_e32 v20, v99, v20
	v_fmac_f32_e32 v120, 0x3f575c64, v27
	v_fma_f32 v27, 0xbf27a4f4, v31, -v110
	v_lshl_add_u32 v29, v23, 3, v83
	v_add_f32_e32 v22, v39, v38
	s_delay_alu instid0(VALU_DEP_3) | instskip(NEXT) | instid1(VALU_DEP_2)
	v_dual_add_f32 v23, v27, v26 :: v_dual_add_f32 v28, v120, v20
	v_add_f32_e32 v21, v24, v22
	v_dual_add_f32 v25, v152, v25 :: v_dual_add_f32 v32, v142, v32
	s_delay_alu instid0(VALU_DEP_3) | instskip(NEXT) | instid1(VALU_DEP_2)
	v_add_f32_e32 v22, v107, v28
	v_add_f32_e32 v20, v146, v25
	ds_store_2addr_b64 v29, v[36:37], v[34:35] offset1:9
	ds_store_2addr_b64 v29, v[96:97], v[94:95] offset0:18 offset1:27
	ds_store_2addr_b64 v29, v[116:117], v[114:115] offset0:36 offset1:45
	;; [unrolled: 1-line block ×4, first 2 shown]
	ds_store_b64 v29, v[79:80] offset:720
.LBB0_5:
	s_wait_alu 0xfffe
	s_or_b32 exec_lo, exec_lo, s2
	v_lshlrev_b32_e32 v52, 4, v81
	v_add_co_u32 v53, null, 0xc6, v81
	global_wb scope:SCOPE_SE
	s_wait_dscnt 0x0
	s_barrier_signal -1
	s_barrier_wait -1
	global_inv scope:SCOPE_SE
	global_load_b128 v[20:23], v52, s[10:11] offset:720
	v_and_b32_e32 v24, 0xffff, v53
	s_delay_alu instid0(VALU_DEP_1) | instskip(NEXT) | instid1(VALU_DEP_1)
	v_mul_u32_u24_e32 v24, 0xa57f, v24
	v_lshrrev_b32_e32 v24, 22, v24
	s_delay_alu instid0(VALU_DEP_1) | instskip(NEXT) | instid1(VALU_DEP_1)
	v_mul_lo_u16 v24, 0x63, v24
	v_sub_nc_u16 v46, v53, v24
	s_delay_alu instid0(VALU_DEP_1) | instskip(NEXT) | instid1(VALU_DEP_1)
	v_lshlrev_b16 v24, 4, v46
	v_and_b32_e32 v24, 0xffff, v24
	s_delay_alu instid0(VALU_DEP_1)
	v_add_co_u32 v24, s2, s10, v24
	s_wait_alu 0xf1ff
	v_add_co_ci_u32_e64 v25, null, s11, 0, s2
	s_add_nc_u64 s[2:3], s[8:9], 0x1bd8
	global_load_b128 v[24:27], v[24:25], off offset:720
	v_add_nc_u32_e32 v45, 0x400, v82
	v_add_nc_u32_e32 v89, 0x1000, v82
	;; [unrolled: 1-line block ×3, first 2 shown]
	ds_load_2addr_b64 v[28:31], v45 offset0:70 offset1:169
	ds_load_2addr_b64 v[32:35], v89 offset0:82 offset1:181
	;; [unrolled: 1-line block ×3, first 2 shown]
	s_wait_loadcnt_dscnt 0x100
	v_mul_f32_e32 v91, v36, v21
	v_dual_mul_f32 v57, v30, v21 :: v_dual_and_b32 v46, 0xffff, v46
	v_mul_f32_e32 v56, v31, v21
	v_mul_f32_e32 v58, v33, v23
	;; [unrolled: 1-line block ×3, first 2 shown]
	s_delay_alu instid0(VALU_DEP_4)
	v_fmac_f32_e32 v57, v31, v20
	v_lshl_add_u32 v87, v46, 3, v83
	ds_load_2addr_b64 v[46:49], v82 offset1:99
	ds_load_b64 v[50:51], v82 offset:6336
	v_dual_fmac_f32 v59, v33, v22 :: v_dual_add_nc_u32 v54, 0x630, v52
	v_dual_mul_f32 v88, v37, v21 :: v_dual_add_nc_u32 v55, 0x1000, v87
	v_dual_mul_f32 v92, v35, v23 :: v_dual_fmac_f32 v91, v37, v20
	v_mul_f32_e32 v93, v34, v23
	v_fma_f32 v30, v30, v20, -v56
	v_fma_f32 v31, v32, v22, -v58
	;; [unrolled: 1-line block ×4, first 2 shown]
	v_dual_fmac_f32 v93, v35, v22 :: v_dual_add_f32 v56, v57, v59
	s_delay_alu instid0(VALU_DEP_4) | instskip(NEXT) | instid1(VALU_DEP_3)
	v_add_f32_e32 v35, v30, v31
	v_dual_sub_f32 v37, v57, v59 :: v_dual_add_f32 v88, v32, v34
	s_delay_alu instid0(VALU_DEP_3)
	v_sub_f32_e32 v92, v91, v93
	global_wb scope:SCOPE_SE
	s_wait_loadcnt_dscnt 0x0
	v_dual_add_f32 v33, v46, v30 :: v_dual_add_f32 v36, v47, v57
	v_dual_sub_f32 v57, v30, v31 :: v_dual_add_f32 v58, v48, v32
	v_dual_add_f32 v94, v49, v91 :: v_dual_add_f32 v91, v91, v93
	s_delay_alu instid0(VALU_DEP_3) | instskip(SKIP_4) | instid1(VALU_DEP_4)
	v_dual_sub_f32 v95, v32, v34 :: v_dual_add_f32 v30, v33, v31
	v_fma_f32 v32, -0.5, v35, v46
	v_fma_f32 v33, -0.5, v56, v47
	v_dual_add_f32 v31, v36, v59 :: v_dual_add_f32 v34, v58, v34
	v_fma_f32 v48, -0.5, v88, v48
	v_dual_add_f32 v35, v94, v93 :: v_dual_fmamk_f32 v36, v37, 0x3f5db3d7, v32
	v_dual_fmac_f32 v49, -0.5, v91 :: v_dual_fmac_f32 v32, 0xbf5db3d7, v37
	v_dual_fmamk_f32 v37, v57, 0xbf5db3d7, v33 :: v_dual_mul_f32 v56, v51, v27
	s_delay_alu instid0(VALU_DEP_4) | instskip(SKIP_2) | instid1(VALU_DEP_4)
	v_dual_fmac_f32 v33, 0x3f5db3d7, v57 :: v_dual_fmamk_f32 v46, v92, 0x3f5db3d7, v48
	v_dual_mul_f32 v47, v39, v25 :: v_dual_mul_f32 v58, v50, v27
	v_dual_mul_f32 v57, v38, v25 :: v_dual_fmac_f32 v48, 0xbf5db3d7, v92
	v_fma_f32 v50, v50, v26, -v56
	s_delay_alu instid0(VALU_DEP_3) | instskip(NEXT) | instid1(VALU_DEP_4)
	v_fma_f32 v38, v38, v24, -v47
	v_fmac_f32_e32 v58, v51, v26
	s_delay_alu instid0(VALU_DEP_4) | instskip(SKIP_3) | instid1(VALU_DEP_2)
	v_fmac_f32_e32 v57, v39, v24
	s_barrier_signal -1
	s_barrier_wait -1
	v_dual_sub_f32 v88, v38, v50 :: v_dual_fmamk_f32 v47, v95, 0xbf5db3d7, v49
	v_dual_fmac_f32 v49, 0x3f5db3d7, v95 :: v_dual_add_f32 v56, v57, v58
	v_sub_f32_e32 v59, v57, v58
	v_add_f32_e32 v39, v38, v50
	v_add_f32_e32 v51, v28, v38
	;; [unrolled: 1-line block ×3, first 2 shown]
	v_fmac_f32_e32 v29, -0.5, v56
	global_inv scope:SCOPE_SE
	v_fma_f32 v28, -0.5, v39, v28
	v_add_f32_e32 v38, v51, v50
	v_add_f32_e32 v39, v57, v58
	v_fmamk_f32 v51, v88, 0xbf5db3d7, v29
	s_delay_alu instid0(VALU_DEP_4)
	v_dual_fmac_f32 v29, 0x3f5db3d7, v88 :: v_dual_fmamk_f32 v50, v59, 0x3f5db3d7, v28
	v_fmac_f32_e32 v28, 0xbf5db3d7, v59
	ds_store_2addr_b64 v82, v[30:31], v[36:37] offset1:99
	ds_store_2addr_b64 v45, v[32:33], v[34:35] offset0:70 offset1:169
	ds_store_2addr_b64 v90, v[46:47], v[48:49] offset0:140 offset1:239
	;; [unrolled: 1-line block ×3, first 2 shown]
	ds_store_b64 v87, v[28:29] offset:6336
	global_wb scope:SCOPE_SE
	s_wait_dscnt 0x0
	s_barrier_signal -1
	s_barrier_wait -1
	global_inv scope:SCOPE_SE
	global_load_b128 v[36:39], v52, s[10:11] offset:2304
	v_lshlrev_b32_e32 v28, 4, v53
	s_clause 0x1
	global_load_b128 v[32:35], v54, s[10:11] offset:2304
	global_load_b128 v[28:31], v28, s[10:11] offset:2304
	ds_load_2addr_b64 v[46:49], v45 offset0:70 offset1:169
	ds_load_2addr_b64 v[50:53], v89 offset0:82 offset1:181
	;; [unrolled: 1-line block ×3, first 2 shown]
	ds_load_b64 v[58:59], v82 offset:6336
	ds_load_2addr_b64 v[91:94], v82 offset1:99
	v_lshl_add_u32 v88, v81, 3, v83
	s_wait_loadcnt_dscnt 0x204
	v_mul_f32_e32 v95, v49, v37
	s_wait_dscnt 0x3
	v_dual_mul_f32 v96, v48, v37 :: v_dual_mul_f32 v97, v51, v39
	s_wait_loadcnt_dscnt 0x102
	v_dual_mul_f32 v98, v50, v39 :: v_dual_mul_f32 v99, v55, v33
	v_mul_f32_e32 v100, v54, v33
	s_delay_alu instid0(VALU_DEP_3) | instskip(NEXT) | instid1(VALU_DEP_3)
	v_fmac_f32_e32 v96, v49, v36
	v_dual_mul_f32 v101, v53, v35 :: v_dual_fmac_f32 v98, v51, v38
	s_wait_loadcnt 0x0
	v_dual_mul_f32 v102, v52, v35 :: v_dual_mul_f32 v103, v57, v29
	v_fmac_f32_e32 v100, v55, v32
	s_wait_dscnt 0x1
	v_dual_mul_f32 v104, v56, v29 :: v_dual_mul_f32 v105, v59, v31
	s_delay_alu instid0(VALU_DEP_3)
	v_fmac_f32_e32 v102, v53, v34
	v_mul_f32_e32 v106, v58, v31
	v_fma_f32 v48, v48, v36, -v95
	v_fma_f32 v49, v50, v38, -v97
	;; [unrolled: 1-line block ×5, first 2 shown]
	s_delay_alu instid0(VALU_DEP_4)
	v_dual_fmac_f32 v104, v57, v28 :: v_dual_add_f32 v55, v48, v49
	v_fma_f32 v54, v58, v30, -v105
	v_dual_fmac_f32 v106, v59, v30 :: v_dual_sub_f32 v59, v48, v49
	s_wait_dscnt 0x0
	v_dual_add_f32 v53, v91, v48 :: v_dual_add_f32 v58, v96, v98
	v_sub_f32_e32 v57, v96, v98
	v_dual_add_f32 v56, v92, v96 :: v_dual_add_f32 v95, v93, v50
	v_dual_add_f32 v96, v50, v52 :: v_dual_sub_f32 v97, v100, v102
	v_add_f32_e32 v108, v47, v104
	v_dual_add_f32 v99, v94, v100 :: v_dual_add_f32 v100, v100, v102
	v_sub_f32_e32 v101, v50, v52
	v_dual_add_f32 v103, v46, v51 :: v_dual_add_f32 v48, v53, v49
	s_delay_alu instid0(VALU_DEP_3)
	v_dual_add_f32 v105, v51, v54 :: v_dual_fmac_f32 v94, -0.5, v100
	v_dual_sub_f32 v107, v104, v106 :: v_dual_add_f32 v52, v95, v52
	v_add_f32_e32 v104, v104, v106
	v_fma_f32 v50, -0.5, v55, v91
	v_sub_f32_e32 v109, v51, v54
	v_fma_f32 v51, -0.5, v58, v92
	v_fma_f32 v93, -0.5, v96, v93
	v_add_f32_e32 v49, v56, v98
	v_dual_add_f32 v54, v103, v54 :: v_dual_fmac_f32 v47, -0.5, v104
	v_fma_f32 v46, -0.5, v105, v46
	v_fmamk_f32 v56, v57, 0x3f5db3d7, v50
	v_dual_fmac_f32 v50, 0xbf5db3d7, v57 :: v_dual_fmamk_f32 v57, v59, 0xbf5db3d7, v51
	v_fmac_f32_e32 v51, 0x3f5db3d7, v59
	v_dual_add_f32 v53, v99, v102 :: v_dual_fmamk_f32 v58, v97, 0x3f5db3d7, v93
	v_fmamk_f32 v59, v101, 0xbf5db3d7, v94
	v_dual_add_f32 v55, v108, v106 :: v_dual_fmac_f32 v94, 0x3f5db3d7, v101
	v_fmac_f32_e32 v93, 0xbf5db3d7, v97
	v_fmamk_f32 v91, v107, 0x3f5db3d7, v46
	v_fmac_f32_e32 v46, 0xbf5db3d7, v107
	v_fmamk_f32 v92, v109, 0xbf5db3d7, v47
	v_fmac_f32_e32 v47, 0x3f5db3d7, v109
	ds_store_b64 v82, v[56:57] offset:2376
	ds_store_b64 v82, v[50:51] offset:4752
	ds_store_2addr_b64 v82, v[48:49], v[52:53] offset1:99
	ds_store_b64 v88, v[58:59] offset:3168
	ds_store_b64 v88, v[93:94] offset:5544
	;; [unrolled: 1-line block ×5, first 2 shown]
	global_wb scope:SCOPE_SE
	s_wait_dscnt 0x0
	s_barrier_signal -1
	s_barrier_wait -1
	global_inv scope:SCOPE_SE
	s_clause 0x8
	global_load_b64 v[40:41], v[40:41], off offset:7128
	global_load_b64 v[58:59], v44, s[2:3] offset:792
	global_load_b64 v[95:96], v44, s[2:3] offset:1584
	global_load_b64 v[97:98], v44, s[2:3] offset:2376
	global_load_b64 v[99:100], v44, s[2:3] offset:3168
	global_load_b64 v[101:102], v44, s[2:3] offset:3960
	global_load_b64 v[103:104], v44, s[2:3] offset:4752
	global_load_b64 v[105:106], v44, s[2:3] offset:5544
	global_load_b64 v[107:108], v44, s[2:3] offset:6336
	ds_load_2addr_b64 v[46:49], v82 offset1:99
	ds_load_2addr_b64 v[50:53], v45 offset0:70 offset1:169
	ds_load_2addr_b64 v[54:57], v90 offset0:140 offset1:239
	;; [unrolled: 1-line block ×3, first 2 shown]
	ds_load_b64 v[109:110], v82 offset:6336
	s_wait_loadcnt_dscnt 0x804
	v_mul_f32_e32 v44, v47, v41
	s_wait_loadcnt 0x7
	v_dual_mul_f32 v112, v46, v41 :: v_dual_mul_f32 v113, v49, v59
	s_wait_loadcnt_dscnt 0x603
	v_dual_mul_f32 v41, v48, v59 :: v_dual_mul_f32 v114, v51, v96
	v_mul_f32_e32 v59, v50, v96
	s_wait_loadcnt_dscnt 0x201
	v_dual_mul_f32 v115, v53, v98 :: v_dual_mul_f32 v118, v92, v104
	v_mul_f32_e32 v96, v52, v98
	v_mul_f32_e32 v116, v55, v100
	v_dual_mul_f32 v98, v54, v100 :: v_dual_mul_f32 v117, v57, v102
	v_mul_f32_e32 v100, v56, v102
	s_wait_loadcnt 0x1
	v_dual_mul_f32 v102, v91, v104 :: v_dual_mul_f32 v119, v94, v106
	v_dual_mul_f32 v104, v93, v106 :: v_dual_fmac_f32 v59, v51, v95
	s_wait_loadcnt_dscnt 0x0
	v_dual_mul_f32 v120, v110, v108 :: v_dual_fmac_f32 v41, v49, v58
	v_mul_f32_e32 v106, v109, v108
	v_fma_f32 v111, v46, v40, -v44
	v_fmac_f32_e32 v112, v47, v40
	v_fma_f32 v40, v48, v58, -v113
	v_fma_f32 v58, v50, v95, -v114
	;; [unrolled: 1-line block ×3, first 2 shown]
	v_fmac_f32_e32 v96, v53, v97
	v_fma_f32 v97, v54, v99, -v116
	v_fmac_f32_e32 v98, v55, v99
	v_fma_f32 v99, v56, v101, -v117
	;; [unrolled: 2-line block ×5, first 2 shown]
	v_fmac_f32_e32 v106, v110, v107
	ds_store_2addr_b64 v82, v[111:112], v[40:41] offset1:99
	ds_store_2addr_b64 v45, v[58:59], v[95:96] offset0:70 offset1:169
	ds_store_2addr_b64 v90, v[97:98], v[99:100] offset0:140 offset1:239
	;; [unrolled: 1-line block ×3, first 2 shown]
	ds_store_b64 v82, v[105:106] offset:6336
	global_wb scope:SCOPE_SE
	s_wait_dscnt 0x0
	s_barrier_signal -1
	s_barrier_wait -1
	global_inv scope:SCOPE_SE
	ds_load_2addr_b64 v[53:56], v82 offset1:99
	ds_load_b64 v[40:41], v82 offset:6336
	ds_load_2addr_b64 v[44:47], v45 offset0:70 offset1:169
	ds_load_2addr_b64 v[48:51], v89 offset0:82 offset1:181
	;; [unrolled: 1-line block ×3, first 2 shown]
	global_wb scope:SCOPE_SE
	s_wait_dscnt 0x0
	s_barrier_signal -1
	s_barrier_wait -1
	global_inv scope:SCOPE_SE
	v_dual_add_f32 v52, v55, v40 :: v_dual_add_f32 v57, v56, v41
	v_add_f32_e32 v59, v45, v51
	v_dual_sub_f32 v45, v45, v51 :: v_dual_add_f32 v96, v47, v49
	s_delay_alu instid0(VALU_DEP_3) | instskip(SKIP_2) | instid1(VALU_DEP_4)
	v_dual_fmamk_f32 v99, v52, 0x3f441b7d, v53 :: v_dual_sub_f32 v40, v55, v40
	v_add_f32_e32 v95, v46, v48
	v_add_f32_e32 v55, v91, v93
	;; [unrolled: 1-line block ×3, first 2 shown]
	s_delay_alu instid0(VALU_DEP_4) | instskip(NEXT) | instid1(VALU_DEP_3)
	v_dual_add_f32 v58, v44, v50 :: v_dual_mul_f32 v97, 0x3f248dbb, v40
	v_dual_sub_f32 v46, v46, v48 :: v_dual_fmamk_f32 v103, v55, 0x3f441b7d, v53
	s_delay_alu instid0(VALU_DEP_2) | instskip(SKIP_2) | instid1(VALU_DEP_3)
	v_dual_sub_f32 v48, v91, v93 :: v_dual_add_f32 v107, v58, v52
	v_sub_f32_e32 v41, v56, v41
	v_dual_sub_f32 v44, v44, v50 :: v_dual_sub_f32 v47, v47, v49
	v_mul_f32_e32 v101, 0xbf248dbb, v48
	v_sub_f32_e32 v49, v92, v94
	v_dual_add_f32 v56, v92, v94 :: v_dual_mul_f32 v109, 0x3f7c1c5c, v48
	v_dual_fmamk_f32 v100, v57, 0x3f441b7d, v54 :: v_dual_fmamk_f32 v111, v58, 0x3f441b7d, v53
	v_dual_mul_f32 v98, 0x3f248dbb, v41 :: v_dual_add_f32 v105, v48, v40
	s_delay_alu instid0(VALU_DEP_4) | instskip(NEXT) | instid1(VALU_DEP_4)
	v_mul_f32_e32 v102, 0xbf248dbb, v49
	v_dual_fmamk_f32 v104, v56, 0x3f441b7d, v54 :: v_dual_add_f32 v113, v55, v107
	v_dual_add_f32 v106, v49, v41 :: v_dual_fmac_f32 v97, 0x3f7c1c5c, v44
	v_dual_add_f32 v50, v95, v53 :: v_dual_fmac_f32 v99, 0x3e31d0d4, v58
	;; [unrolled: 1-line block ×3, first 2 shown]
	v_dual_mul_f32 v110, 0x3f7c1c5c, v49 :: v_dual_add_f32 v107, v95, v107
	s_delay_alu instid0(VALU_DEP_3)
	v_dual_fmamk_f32 v112, v59, 0x3f441b7d, v54 :: v_dual_fmac_f32 v99, -0.5, v95
	v_dual_fmac_f32 v100, 0x3e31d0d4, v59 :: v_dual_fmac_f32 v103, 0x3e31d0d4, v52
	v_fmac_f32_e32 v98, 0x3f7c1c5c, v45
	v_dual_fmac_f32 v104, 0x3e31d0d4, v57 :: v_dual_fmac_f32 v111, 0x3e31d0d4, v55
	v_dual_sub_f32 v105, v105, v44 :: v_dual_sub_f32 v106, v106, v45
	v_dual_fmac_f32 v97, 0x3f5db3d7, v46 :: v_dual_add_f32 v114, v56, v108
	v_fmac_f32_e32 v101, 0xbf5db3d7, v46
	v_fmac_f32_e32 v102, 0x3f7c1c5c, v41
	v_fma_f32 v109, 0xbf248dbb, v44, -v109
	v_fma_f32 v110, 0xbf248dbb, v45, -v110
	v_dual_fmac_f32 v51, -0.5, v114 :: v_dual_add_f32 v108, v96, v108
	v_mul_f32_e32 v115, 0x3f5db3d7, v105
	v_dual_fmac_f32 v112, 0x3e31d0d4, v56 :: v_dual_fmac_f32 v111, -0.5, v95
	v_dual_fmac_f32 v100, -0.5, v96 :: v_dual_fmac_f32 v99, 0xbf708fb2, v55
	v_fmac_f32_e32 v102, 0xbf5db3d7, v47
	v_fmac_f32_e32 v103, -0.5, v95
	v_dual_fmac_f32 v98, 0x3f5db3d7, v47 :: v_dual_fmac_f32 v109, 0x3f5db3d7, v46
	v_fmac_f32_e32 v104, -0.5, v96
	v_dual_fmac_f32 v50, -0.5, v113 :: v_dual_fmac_f32 v97, 0x3eaf1d44, v48
	v_dual_add_f32 v46, v91, v107 :: v_dual_fmac_f32 v101, 0x3eaf1d44, v44
	v_fmac_f32_e32 v100, 0xbf708fb2, v56
	v_dual_fmac_f32 v110, 0x3f5db3d7, v47 :: v_dual_add_f32 v47, v92, v108
	v_fmac_f32_e32 v112, -0.5, v96
	v_dual_fmac_f32 v98, 0x3eaf1d44, v49 :: v_dual_fmac_f32 v109, 0x3eaf1d44, v40
	v_dual_fmac_f32 v103, 0xbf708fb2, v58 :: v_dual_fmac_f32 v104, 0xbf708fb2, v59
	v_fmac_f32_e32 v111, 0xbf708fb2, v52
	v_fmac_f32_e32 v102, 0x3eaf1d44, v45
	;; [unrolled: 1-line block ×3, first 2 shown]
	v_add_f32_e32 v40, v93, v46
	v_add_f32_e32 v49, v101, v104
	v_dual_add_f32 v41, v94, v47 :: v_dual_fmac_f32 v112, 0xbf708fb2, v57
	v_dual_mul_f32 v116, 0x3f5db3d7, v106 :: v_dual_fmac_f32 v51, 0x3f5db3d7, v105
	v_fmac_f32_e32 v50, 0xbf5db3d7, v106
	v_sub_f32_e32 v46, v99, v98
	v_sub_f32_e32 v48, v103, v102
	v_dual_add_f32 v44, v40, v53 :: v_dual_add_f32 v53, v109, v112
	v_sub_f32_e32 v52, v111, v110
	v_add_f32_e32 v45, v41, v54
	v_add_f32_e32 v47, v97, v100
	v_fma_f32 v56, 2.0, v116, v50
	v_fma_f32 v57, -2.0, v115, v51
	v_fma_f32 v40, 2.0, v98, v46
	v_fma_f32 v58, 2.0, v102, v48
	;; [unrolled: 1-line block ×3, first 2 shown]
	v_fma_f32 v55, -2.0, v109, v53
	v_fma_f32 v59, -2.0, v101, v49
	v_fma_f32 v41, -2.0, v97, v47
	ds_store_2addr_b64 v86, v[44:45], v[46:47] offset1:1
	ds_store_2addr_b64 v86, v[48:49], v[50:51] offset0:2 offset1:3
	ds_store_2addr_b64 v86, v[52:53], v[54:55] offset0:4 offset1:5
	;; [unrolled: 1-line block ×3, first 2 shown]
	ds_store_b64 v86, v[40:41] offset:64
	global_wb scope:SCOPE_SE
	s_wait_dscnt 0x0
	s_barrier_signal -1
	s_barrier_wait -1
	global_inv scope:SCOPE_SE
	s_and_saveexec_b32 s2, vcc_lo
	s_cbranch_execz .LBB0_7
; %bb.6:
	v_add_nc_u32_e32 v56, 0xc00, v82
	ds_load_2addr_b64 v[44:47], v82 offset1:81
	ds_load_2addr_b64 v[48:51], v82 offset0:162 offset1:243
	ds_load_2addr_b64 v[52:55], v90 offset0:68 offset1:149
	;; [unrolled: 1-line block ×4, first 2 shown]
	ds_load_b64 v[79:80], v82 offset:6480
.LBB0_7:
	s_wait_alu 0xfffe
	s_or_b32 exec_lo, exec_lo, s2
	v_add_nc_u32_e32 v86, 0x630, v82
	global_wb scope:SCOPE_SE
	s_wait_dscnt 0x0
	s_barrier_signal -1
	s_barrier_wait -1
	global_inv scope:SCOPE_SE
	s_and_saveexec_b32 s2, vcc_lo
	s_cbranch_execz .LBB0_9
; %bb.8:
	v_dual_mul_f32 v89, v19, v79 :: v_dual_mul_f32 v90, v13, v46
	v_mul_f32_e32 v13, v13, v47
	s_delay_alu instid0(VALU_DEP_2)
	v_fma_f32 v47, v12, v47, -v90
	v_mul_f32_e32 v90, v15, v48
	v_mul_f32_e32 v15, v15, v49
	;; [unrolled: 1-line block ×3, first 2 shown]
	v_fma_f32 v80, v18, v80, -v89
	v_fmac_f32_e32 v13, v12, v46
	s_delay_alu instid0(VALU_DEP_4)
	v_fmac_f32_e32 v15, v14, v48
	v_mul_f32_e32 v89, v17, v42
	v_mul_f32_e32 v17, v17, v43
	v_fmac_f32_e32 v19, v18, v79
	v_fma_f32 v79, v14, v49, -v90
	v_add_f32_e32 v18, v80, v47
	v_mul_f32_e32 v48, v9, v50
	v_dual_fmac_f32 v17, v16, v42 :: v_dual_mul_f32 v42, v7, v40
	v_mul_f32_e32 v9, v9, v51
	s_delay_alu instid0(VALU_DEP_4) | instskip(NEXT) | instid1(VALU_DEP_4)
	v_mul_f32_e32 v125, 0x3ed4b147, v18
	v_fma_f32 v48, v8, v51, -v48
	s_delay_alu instid0(VALU_DEP_4)
	v_sub_f32_e32 v12, v15, v17
	v_fma_f32 v46, v16, v43, -v89
	v_fma_f32 v42, v6, v41, -v42
	v_mul_f32_e32 v51, v11, v52
	v_mul_f32_e32 v43, 0xbf75a155, v18
	v_fmac_f32_e32 v9, v8, v50
	v_add_f32_e32 v89, v46, v79
	v_mul_f32_e32 v50, v5, v59
	v_sub_f32_e32 v94, v79, v46
	v_sub_f32_e32 v96, v48, v42
	v_mul_f32_e32 v114, 0xbe11bafb, v18
	v_mul_f32_e32 v16, 0x3f575c64, v89
	v_fmac_f32_e32 v50, v4, v58
	v_mul_f32_e32 v122, 0x3e903f40, v94
	v_mul_f32_e32 v99, 0xbf4178ce, v96
	s_delay_alu instid0(VALU_DEP_4) | instskip(SKIP_4) | instid1(VALU_DEP_4)
	v_dual_mul_f32 v113, 0xbf0a6770, v96 :: v_dual_fmamk_f32 v90, v12, 0xbf0a6770, v16
	v_mul_f32_e32 v41, v7, v41
	v_mul_f32_e32 v7, v5, v58
	;; [unrolled: 1-line block ×4, first 2 shown]
	v_dual_mul_f32 v136, 0x3f575c64, v18 :: v_dual_fmac_f32 v41, v6, v40
	s_delay_alu instid0(VALU_DEP_4)
	v_fma_f32 v8, v4, v59, -v7
	v_fma_f32 v40, v10, v53, -v51
	v_sub_f32_e32 v49, v13, v19
	v_sub_f32_e32 v59, v47, v80
	v_mul_f32_e32 v11, v11, v53
	v_mul_f32_e32 v7, v3, v56
	v_add_f32_e32 v6, v8, v40
	v_fmamk_f32 v14, v49, 0x3e903f40, v43
	v_mul_f32_e32 v92, 0xbe903f40, v59
	v_sub_f32_e32 v100, v40, v8
	v_fma_f32 v58, v2, v57, -v7
	v_mul_f32_e32 v111, 0x3f7d64f0, v94
	v_dual_add_f32 v14, v45, v14 :: v_dual_fmac_f32 v11, v10, v52
	v_dual_mul_f32 v10, v1, v54 :: v_dual_add_f32 v91, v42, v48
	s_delay_alu instid0(VALU_DEP_2) | instskip(SKIP_1) | instid1(VALU_DEP_3)
	v_dual_mul_f32 v103, 0x3f68dda4, v100 :: v_dual_add_f32 v4, v90, v14
	v_add_f32_e32 v90, v19, v13
	v_fma_f32 v10, v0, v55, -v10
	v_mul_f32_e32 v55, v1, v55
	v_dual_sub_f32 v53, v9, v41 :: v_dual_sub_f32 v52, v11, v50
	v_mul_f32_e32 v51, 0xbf27a4f4, v91
	v_mul_f32_e32 v14, 0x3ed4b147, v6
	s_delay_alu instid0(VALU_DEP_4) | instskip(SKIP_1) | instid1(VALU_DEP_4)
	v_dual_fmac_f32 v55, v0, v54 :: v_dual_fmamk_f32 v0, v90, 0xbf75a155, v92
	v_add_f32_e32 v93, v58, v10
	v_dual_fmamk_f32 v5, v53, 0x3f4178ce, v51 :: v_dual_sub_f32 v104, v10, v58
	v_mul_f32_e32 v138, 0x3f7d64f0, v100
	s_delay_alu instid0(VALU_DEP_4) | instskip(NEXT) | instid1(VALU_DEP_3)
	v_dual_add_f32 v0, v44, v0 :: v_dual_mul_f32 v57, v3, v57
	v_dual_add_f32 v4, v5, v4 :: v_dual_fmamk_f32 v5, v52, 0xbf68dda4, v14
	v_add_f32_e32 v54, v17, v15
	v_add_f32_e32 v102, v50, v11
	s_delay_alu instid0(VALU_DEP_4) | instskip(NEXT) | instid1(VALU_DEP_4)
	v_dual_fmac_f32 v57, v2, v56 :: v_dual_mul_f32 v56, 0x3f0a6770, v94
	v_add_f32_e32 v4, v5, v4
	v_add_f32_e32 v98, v41, v9
	v_mul_f32_e32 v112, 0x3ed4b147, v93
	s_delay_alu instid0(VALU_DEP_4) | instskip(SKIP_4) | instid1(VALU_DEP_4)
	v_sub_f32_e32 v97, v55, v57
	v_fmamk_f32 v1, v54, 0x3f575c64, v56
	v_mul_f32_e32 v107, 0xbf7d64f0, v104
	v_fmamk_f32 v3, v98, 0xbf27a4f4, v99
	v_dual_mul_f32 v108, 0x3f575c64, v91 :: v_dual_fmamk_f32 v7, v98, 0x3f575c64, v113
	v_dual_add_f32 v0, v1, v0 :: v_dual_mul_f32 v95, 0xbe11bafb, v93
	v_fmamk_f32 v5, v54, 0xbe11bafb, v111
	v_mul_f32_e32 v115, 0xbe903f40, v100
	v_dual_add_f32 v47, v47, v45 :: v_dual_fmac_f32 v14, 0x3f68dda4, v52
	s_delay_alu instid0(VALU_DEP_4)
	v_add_f32_e32 v0, v3, v0
	v_fmamk_f32 v2, v97, 0x3f7d64f0, v95
	v_fmamk_f32 v3, v102, 0x3ed4b147, v103
	v_mul_f32_e32 v101, 0xbf27a4f4, v18
	v_mul_f32_e32 v109, 0xbf4178ce, v59
	v_fmac_f32_e32 v95, 0xbf7d64f0, v97
	s_delay_alu instid0(VALU_DEP_4) | instskip(NEXT) | instid1(VALU_DEP_4)
	v_dual_fmamk_f32 v139, v102, 0xbe11bafb, v138 :: v_dual_add_f32 v0, v3, v0
	v_dual_add_f32 v1, v2, v4 :: v_dual_fmamk_f32 v2, v49, 0x3f4178ce, v101
	v_mul_f32_e32 v117, 0x3f68dda4, v104
	v_dual_fmamk_f32 v123, v54, 0xbf75a155, v122 :: v_dual_mul_f32 v130, 0xbf75a155, v91
	s_delay_alu instid0(VALU_DEP_3)
	v_dual_add_f32 v47, v79, v47 :: v_dual_add_f32 v2, v45, v2
	v_add_f32_e32 v106, v57, v55
	v_mul_f32_e32 v118, 0x3ed4b147, v91
	v_mul_f32_e32 v124, 0x3f68dda4, v96
	;; [unrolled: 1-line block ×3, first 2 shown]
	v_fmac_f32_e32 v43, 0xbe903f40, v49
	v_fmamk_f32 v3, v106, 0xbe11bafb, v107
	v_mul_f32_e32 v105, 0xbe11bafb, v89
	v_fmamk_f32 v120, v53, 0xbf68dda4, v118
	v_fmamk_f32 v131, v106, 0xbf27a4f4, v128
	s_delay_alu instid0(VALU_DEP_4) | instskip(NEXT) | instid1(VALU_DEP_4)
	v_dual_fmac_f32 v51, 0xbf4178ce, v53 :: v_dual_add_f32 v0, v3, v0
	v_fmamk_f32 v4, v12, 0xbf7d64f0, v105
	v_fmamk_f32 v3, v90, 0xbf27a4f4, v109
	v_fmac_f32_e32 v101, 0xbf4178ce, v49
	v_fmac_f32_e32 v105, 0x3f7d64f0, v12
	;; [unrolled: 1-line block ×3, first 2 shown]
	v_add_f32_e32 v2, v4, v2
	v_dual_fmamk_f32 v4, v53, 0x3f0a6770, v108 :: v_dual_add_f32 v3, v44, v3
	v_mul_f32_e32 v110, 0xbf75a155, v6
	v_fmac_f32_e32 v108, 0xbf0a6770, v53
	s_delay_alu instid0(VALU_DEP_3) | instskip(NEXT) | instid1(VALU_DEP_3)
	v_dual_add_f32 v2, v4, v2 :: v_dual_add_f32 v5, v5, v3
	v_fmamk_f32 v4, v52, 0x3e903f40, v110
	v_dual_add_f32 v13, v44, v13 :: v_dual_fmac_f32 v110, 0xbe903f40, v52
	s_delay_alu instid0(VALU_DEP_2) | instskip(NEXT) | instid1(VALU_DEP_2)
	v_add_f32_e32 v2, v4, v2
	v_dual_fmamk_f32 v4, v97, 0xbf68dda4, v112 :: v_dual_add_f32 v13, v15, v13
	v_dual_fmac_f32 v112, 0x3f68dda4, v97 :: v_dual_add_f32 v15, v48, v47
	v_mul_f32_e32 v48, 0xbf68dda4, v94
	s_delay_alu instid0(VALU_DEP_3) | instskip(SKIP_3) | instid1(VALU_DEP_4)
	v_dual_add_f32 v3, v4, v2 :: v_dual_fmamk_f32 v2, v49, 0x3f7d64f0, v114
	v_dual_add_f32 v4, v7, v5 :: v_dual_fmamk_f32 v5, v102, 0xbf75a155, v115
	v_fmamk_f32 v7, v12, 0xbe903f40, v116
	v_fmac_f32_e32 v114, 0xbf7d64f0, v49
	v_add_f32_e32 v2, v45, v2
	v_fmac_f32_e32 v116, 0x3e903f40, v12
	v_dual_add_f32 v4, v5, v4 :: v_dual_fmamk_f32 v5, v106, 0x3ed4b147, v117
	v_mul_f32_e32 v119, 0xbf7d64f0, v59
	s_delay_alu instid0(VALU_DEP_4) | instskip(SKIP_4) | instid1(VALU_DEP_3)
	v_add_f32_e32 v7, v7, v2
	v_add_f32_e32 v9, v9, v13
	v_dual_add_f32 v13, v40, v15 :: v_dual_fmac_f32 v118, 0x3f68dda4, v53
	v_add_f32_e32 v2, v5, v4
	v_fmamk_f32 v4, v90, 0xbe11bafb, v119
	v_dual_fmamk_f32 v129, v12, 0x3f4178ce, v127 :: v_dual_add_f32 v10, v10, v13
	v_mul_f32_e32 v126, 0xbf0a6770, v100
	v_mul_f32_e32 v135, 0x3e903f40, v96
	s_delay_alu instid0(VALU_DEP_4) | instskip(NEXT) | instid1(VALU_DEP_4)
	v_add_f32_e32 v4, v44, v4
	v_dual_add_f32 v5, v120, v7 :: v_dual_add_f32 v10, v58, v10
	v_mul_f32_e32 v120, 0xbf27a4f4, v93
	v_dual_mul_f32 v89, 0x3ed4b147, v89 :: v_dual_fmamk_f32 v40, v54, 0x3ed4b147, v48
	s_delay_alu instid0(VALU_DEP_4) | instskip(NEXT) | instid1(VALU_DEP_4)
	v_dual_add_f32 v4, v123, v4 :: v_dual_fmamk_f32 v123, v98, 0x3ed4b147, v124
	v_add_f32_e32 v8, v8, v10
	v_mul_f32_e32 v121, 0x3f575c64, v6
	v_add_f32_e32 v9, v11, v9
	s_delay_alu instid0(VALU_DEP_4) | instskip(NEXT) | instid1(VALU_DEP_3)
	v_dual_add_f32 v4, v123, v4 :: v_dual_fmamk_f32 v123, v102, 0x3f575c64, v126
	v_dual_fmamk_f32 v7, v52, 0x3f0a6770, v121 :: v_dual_add_f32 v8, v42, v8
	v_fmac_f32_e32 v121, 0xbf0a6770, v52
	s_delay_alu instid0(VALU_DEP_3) | instskip(SKIP_1) | instid1(VALU_DEP_4)
	v_dual_add_f32 v4, v123, v4 :: v_dual_mul_f32 v123, 0xbf68dda4, v59
	v_mul_f32_e32 v59, 0xbf0a6770, v59
	v_add_f32_e32 v5, v7, v5
	s_delay_alu instid0(VALU_DEP_3) | instskip(SKIP_1) | instid1(VALU_DEP_4)
	v_dual_fmamk_f32 v7, v97, 0x3f4178ce, v120 :: v_dual_add_f32 v4, v131, v4
	v_fmac_f32_e32 v120, 0xbf4178ce, v97
	v_fmamk_f32 v47, v90, 0x3f575c64, v59
	s_delay_alu instid0(VALU_DEP_3) | instskip(SKIP_2) | instid1(VALU_DEP_4)
	v_add_f32_e32 v5, v7, v5
	v_fmamk_f32 v7, v49, 0x3f68dda4, v125
	v_fma_f32 v42, 0x3ed4b147, v98, -v124
	v_add_f32_e32 v15, v44, v47
	v_mul_f32_e32 v47, 0xbf7d64f0, v96
	v_mul_f32_e32 v91, 0xbe11bafb, v91
	v_add_f32_e32 v7, v45, v7
	s_delay_alu instid0(VALU_DEP_3) | instskip(SKIP_2) | instid1(VALU_DEP_4)
	v_dual_add_f32 v13, v40, v15 :: v_dual_fmamk_f32 v40, v98, 0xbe11bafb, v47
	v_add_f32_e32 v15, v55, v9
	v_mul_f32_e32 v55, 0xbf4178ce, v100
	v_add_f32_e32 v7, v129, v7
	s_delay_alu instid0(VALU_DEP_4) | instskip(SKIP_1) | instid1(VALU_DEP_4)
	v_dual_fmamk_f32 v129, v53, 0xbe903f40, v130 :: v_dual_add_f32 v10, v40, v13
	v_mul_f32_e32 v40, 0xbe903f40, v104
	v_fmamk_f32 v13, v102, 0xbf27a4f4, v55
	v_fmamk_f32 v133, v90, 0x3ed4b147, v123
	s_delay_alu instid0(VALU_DEP_4) | instskip(NEXT) | instid1(VALU_DEP_3)
	v_dual_add_f32 v7, v129, v7 :: v_dual_fmac_f32 v130, 0x3e903f40, v53
	v_add_f32_e32 v10, v13, v10
	s_delay_alu instid0(VALU_DEP_3) | instskip(SKIP_1) | instid1(VALU_DEP_2)
	v_dual_mul_f32 v132, 0xbe11bafb, v6 :: v_dual_add_f32 v131, v44, v133
	v_fmamk_f32 v13, v106, 0xbf75a155, v40
	v_fmamk_f32 v129, v52, 0xbf7d64f0, v132
	v_mul_f32_e32 v134, 0xbf4178ce, v94
	s_delay_alu instid0(VALU_DEP_2) | instskip(SKIP_1) | instid1(VALU_DEP_3)
	v_dual_fmac_f32 v132, 0x3f7d64f0, v52 :: v_dual_add_f32 v7, v129, v7
	v_mul_f32_e32 v129, 0x3f575c64, v93
	v_fmamk_f32 v133, v54, 0xbf27a4f4, v134
	s_delay_alu instid0(VALU_DEP_2) | instskip(NEXT) | instid1(VALU_DEP_2)
	v_fmamk_f32 v137, v97, 0xbf0a6770, v129
	v_dual_add_f32 v18, v133, v131 :: v_dual_fmamk_f32 v131, v98, 0xbf75a155, v135
	v_fmamk_f32 v133, v49, 0x3f0a6770, v136
	s_delay_alu instid0(VALU_DEP_3) | instskip(NEXT) | instid1(VALU_DEP_3)
	v_dual_fmac_f32 v136, 0xbf0a6770, v49 :: v_dual_add_f32 v7, v137, v7
	v_dual_mul_f32 v137, 0x3f0a6770, v104 :: v_dual_add_f32 v18, v131, v18
	s_delay_alu instid0(VALU_DEP_3) | instskip(SKIP_1) | instid1(VALU_DEP_3)
	v_add_f32_e32 v131, v45, v133
	v_fmamk_f32 v133, v12, 0x3f68dda4, v89
	v_dual_fmac_f32 v89, 0xbf68dda4, v12 :: v_dual_add_f32 v18, v139, v18
	v_mul_f32_e32 v139, 0xbf27a4f4, v6
	s_delay_alu instid0(VALU_DEP_3)
	v_add_f32_e32 v131, v133, v131
	v_fmamk_f32 v133, v53, 0x3f7d64f0, v91
	v_fmamk_f32 v6, v106, 0x3f575c64, v137
	v_fmac_f32_e32 v91, 0xbf7d64f0, v53
	v_fmamk_f32 v79, v52, 0x3f4178ce, v139
	v_fmac_f32_e32 v129, 0x3f0a6770, v97
	s_delay_alu instid0(VALU_DEP_4) | instskip(NEXT) | instid1(VALU_DEP_1)
	v_dual_add_f32 v131, v133, v131 :: v_dual_add_f32 v6, v6, v18
	v_dual_fmac_f32 v127, 0xbf4178ce, v12 :: v_dual_add_f32 v18, v79, v131
	v_mul_f32_e32 v79, 0xbf75a155, v93
	v_fmac_f32_e32 v125, 0xbf68dda4, v49
	s_delay_alu instid0(VALU_DEP_2) | instskip(NEXT) | instid1(VALU_DEP_1)
	v_fmamk_f32 v11, v97, 0x3e903f40, v79
	v_add_f32_e32 v9, v11, v18
	v_add_f32_e32 v11, v57, v15
	v_dual_add_f32 v15, v46, v8 :: v_dual_add_f32 v18, v45, v43
	v_add_f32_e32 v8, v13, v10
	v_fma_f32 v13, 0xbf75a155, v90, -v92
	s_delay_alu instid0(VALU_DEP_4) | instskip(SKIP_1) | instid1(VALU_DEP_3)
	v_add_f32_e32 v11, v50, v11
	v_fma_f32 v43, 0xbf27a4f4, v106, -v128
	v_add_f32_e32 v13, v44, v13
	s_delay_alu instid0(VALU_DEP_3) | instskip(SKIP_1) | instid1(VALU_DEP_2)
	v_add_f32_e32 v11, v41, v11
	v_fma_f32 v41, 0xbf75a155, v54, -v122
	v_add_f32_e32 v10, v17, v11
	v_add_f32_e32 v11, v80, v15
	v_add_f32_e32 v15, v16, v18
	v_fma_f32 v16, 0x3f575c64, v54, -v56
	v_add_f32_e32 v17, v45, v101
	v_fma_f32 v18, 0xbe11bafb, v54, -v111
	v_add_f32_e32 v10, v19, v10
	v_add_f32_e32 v15, v51, v15
	;; [unrolled: 1-line block ×3, first 2 shown]
	v_fma_f32 v16, 0xbf27a4f4, v98, -v99
	s_delay_alu instid0(VALU_DEP_3) | instskip(SKIP_1) | instid1(VALU_DEP_3)
	v_dual_add_f32 v19, v45, v114 :: v_dual_add_f32 v14, v14, v15
	v_add_f32_e32 v15, v105, v17
	v_add_f32_e32 v13, v16, v13
	v_fma_f32 v16, 0x3ed4b147, v102, -v103
	v_fma_f32 v17, 0xbf27a4f4, v90, -v109
	v_add_f32_e32 v19, v116, v19
	v_dual_add_f32 v15, v108, v15 :: v_dual_add_f32 v14, v95, v14
	s_delay_alu instid0(VALU_DEP_4) | instskip(SKIP_2) | instid1(VALU_DEP_4)
	v_add_f32_e32 v13, v16, v13
	v_fma_f32 v16, 0xbe11bafb, v106, -v107
	v_add_f32_e32 v17, v44, v17
	v_add_f32_e32 v15, v110, v15
	;; [unrolled: 1-line block ×3, first 2 shown]
	s_delay_alu instid0(VALU_DEP_4) | instskip(NEXT) | instid1(VALU_DEP_4)
	v_add_f32_e32 v13, v16, v13
	v_add_f32_e32 v17, v18, v17
	v_fma_f32 v18, 0x3f575c64, v98, -v113
	v_add_f32_e32 v16, v112, v15
	v_fma_f32 v15, 0xbe11bafb, v90, -v119
	v_add_f32_e32 v19, v121, v19
	s_delay_alu instid0(VALU_DEP_4) | instskip(SKIP_1) | instid1(VALU_DEP_4)
	v_add_f32_e32 v17, v18, v17
	v_fma_f32 v18, 0xbf75a155, v102, -v115
	v_add_f32_e32 v15, v44, v15
	s_delay_alu instid0(VALU_DEP_2) | instskip(SKIP_1) | instid1(VALU_DEP_3)
	v_add_f32_e32 v17, v18, v17
	v_fma_f32 v18, 0x3ed4b147, v106, -v117
	v_add_f32_e32 v41, v41, v15
	s_delay_alu instid0(VALU_DEP_2) | instskip(NEXT) | instid1(VALU_DEP_2)
	v_add_f32_e32 v15, v18, v17
	v_add_f32_e32 v17, v42, v41
	v_fma_f32 v18, 0x3f575c64, v102, -v126
	v_fma_f32 v42, 0x3ed4b147, v90, -v123
	v_add_f32_e32 v41, v45, v125
	v_add_f32_e32 v45, v45, v136
	s_delay_alu instid0(VALU_DEP_4) | instskip(NEXT) | instid1(VALU_DEP_4)
	v_dual_add_f32 v17, v18, v17 :: v_dual_add_f32 v18, v120, v19
	v_add_f32_e32 v19, v44, v42
	v_fma_f32 v42, 0xbf27a4f4, v54, -v134
	v_add_f32_e32 v41, v127, v41
	s_delay_alu instid0(VALU_DEP_4) | instskip(SKIP_1) | instid1(VALU_DEP_4)
	v_add_f32_e32 v17, v43, v17
	v_fma_f32 v43, 0x3f575c64, v90, -v59
	v_add_f32_e32 v19, v42, v19
	v_fma_f32 v42, 0xbf75a155, v98, -v135
	v_add_f32_e32 v41, v130, v41
	s_delay_alu instid0(VALU_DEP_2)
	v_add_f32_e32 v12, v42, v19
	v_add_f32_e32 v19, v44, v43
	v_fma_f32 v42, 0x3ed4b147, v54, -v48
	v_fma_f32 v43, 0xbe11bafb, v102, -v138
	v_dual_add_f32 v44, v89, v45 :: v_dual_fmac_f32 v139, 0xbf4178ce, v52
	v_add_f32_e32 v41, v132, v41
	s_delay_alu instid0(VALU_DEP_4)
	v_add_f32_e32 v19, v42, v19
	v_fma_f32 v42, 0xbe11bafb, v98, -v47
	v_add_f32_e32 v12, v43, v12
	v_add_f32_e32 v43, v91, v44
	v_mul_u32_u24_e32 v44, 0x63, v85
	v_fma_f32 v45, 0x3f575c64, v106, -v137
	v_add_f32_e32 v19, v42, v19
	v_fma_f32 v42, 0xbf27a4f4, v102, -v55
	s_delay_alu instid0(VALU_DEP_4) | instskip(SKIP_2) | instid1(VALU_DEP_4)
	v_dual_add_f32 v43, v139, v43 :: v_dual_add_nc_u32 v44, v44, v84
	v_fmac_f32_e32 v79, 0xbe903f40, v97
	v_add_f32_e32 v41, v129, v41
	v_add_f32_e32 v19, v42, v19
	v_fma_f32 v42, 0xbf75a155, v106, -v40
	v_lshl_add_u32 v44, v44, 3, v83
	v_dual_add_f32 v40, v45, v12 :: v_dual_add_f32 v43, v79, v43
	s_delay_alu instid0(VALU_DEP_3)
	v_add_f32_e32 v42, v42, v19
	ds_store_2addr_b64 v44, v[10:11], v[8:9] offset1:9
	ds_store_2addr_b64 v44, v[6:7], v[4:5] offset0:18 offset1:27
	ds_store_2addr_b64 v44, v[2:3], v[0:1] offset0:36 offset1:45
	;; [unrolled: 1-line block ×4, first 2 shown]
	ds_store_b64 v44, v[42:43] offset:720
.LBB0_9:
	s_wait_alu 0xfffe
	s_or_b32 exec_lo, exec_lo, s2
	global_wb scope:SCOPE_SE
	s_wait_dscnt 0x0
	s_barrier_signal -1
	s_barrier_wait -1
	global_inv scope:SCOPE_SE
	ds_load_b64 v[16:17], v82 offset:6336
	v_add_nc_u32_e32 v18, 0x400, v82
	v_add_nc_u32_e32 v40, 0x1000, v82
	;; [unrolled: 1-line block ×3, first 2 shown]
	s_mov_b32 s2, 0x7210aa18
	s_mov_b32 s3, 0x3f526369
	s_wait_dscnt 0x0
	v_mul_f32_e32 v41, v27, v17
	v_mul_f32_e32 v27, v27, v16
	ds_load_2addr_b64 v[0:3], v18 offset0:70 offset1:169
	ds_load_2addr_b64 v[4:7], v40 offset0:82 offset1:181
	;; [unrolled: 1-line block ×3, first 2 shown]
	ds_load_2addr_b64 v[12:15], v82 offset1:99
	global_wb scope:SCOPE_SE
	s_wait_dscnt 0x0
	s_barrier_signal -1
	s_barrier_wait -1
	v_fma_f32 v17, v26, v17, -v27
	global_inv scope:SCOPE_SE
	v_mul_f32_e32 v42, v21, v3
	v_dual_mul_f32 v43, v21, v2 :: v_dual_mul_f32 v44, v23, v5
	v_dual_mul_f32 v45, v23, v4 :: v_dual_mul_f32 v46, v21, v9
	s_delay_alu instid0(VALU_DEP_3) | instskip(NEXT) | instid1(VALU_DEP_3)
	v_dual_mul_f32 v21, v21, v8 :: v_dual_fmac_f32 v42, v20, v2
	v_dual_mul_f32 v47, v23, v7 :: v_dual_fmac_f32 v44, v22, v4
	s_delay_alu instid0(VALU_DEP_4) | instskip(NEXT) | instid1(VALU_DEP_4)
	v_fma_f32 v3, v20, v3, -v43
	v_fma_f32 v5, v22, v5, -v45
	v_dual_mul_f32 v23, v23, v6 :: v_dual_mul_f32 v48, v25, v11
	v_dual_mul_f32 v25, v25, v10 :: v_dual_fmac_f32 v46, v20, v8
	s_delay_alu instid0(VALU_DEP_3)
	v_dual_fmac_f32 v47, v22, v6 :: v_dual_add_f32 v6, v3, v5
	v_add_f32_e32 v2, v42, v44
	v_dual_add_f32 v8, v13, v3 :: v_dual_fmac_f32 v41, v26, v16
	v_fmac_f32_e32 v48, v24, v10
	v_fma_f32 v9, v20, v9, -v21
	v_fma_f32 v16, v22, v7, -v23
	;; [unrolled: 1-line block ×3, first 2 shown]
	v_sub_f32_e32 v7, v3, v5
	v_fma_f32 v2, -0.5, v2, v12
	v_fma_f32 v3, -0.5, v6, v13
	v_add_f32_e32 v11, v14, v46
	v_dual_sub_f32 v10, v42, v44 :: v_dual_add_f32 v5, v8, v5
	v_add_f32_e32 v4, v12, v42
	v_fmamk_f32 v6, v7, 0xbf5db3d7, v2
	s_delay_alu instid0(VALU_DEP_3) | instskip(NEXT) | instid1(VALU_DEP_3)
	v_dual_fmac_f32 v2, 0x3f5db3d7, v7 :: v_dual_fmamk_f32 v7, v10, 0x3f5db3d7, v3
	v_dual_fmac_f32 v3, 0xbf5db3d7, v10 :: v_dual_add_f32 v4, v4, v44
	v_dual_add_f32 v10, v9, v16 :: v_dual_sub_f32 v13, v46, v47
	v_dual_sub_f32 v12, v9, v16 :: v_dual_add_f32 v9, v15, v9
	s_delay_alu instid0(VALU_DEP_2) | instskip(SKIP_1) | instid1(VALU_DEP_3)
	v_dual_add_f32 v8, v46, v47 :: v_dual_fmac_f32 v15, -0.5, v10
	v_sub_f32_e32 v21, v20, v17
	v_dual_sub_f32 v22, v48, v41 :: v_dual_add_f32 v9, v9, v16
	s_delay_alu instid0(VALU_DEP_3) | instskip(NEXT) | instid1(VALU_DEP_4)
	v_fma_f32 v14, -0.5, v8, v14
	v_dual_add_f32 v8, v11, v47 :: v_dual_fmamk_f32 v11, v13, 0x3f5db3d7, v15
	v_fmac_f32_e32 v15, 0xbf5db3d7, v13
	v_dual_add_f32 v13, v20, v17 :: v_dual_add_f32 v20, v1, v20
	s_delay_alu instid0(VALU_DEP_4) | instskip(NEXT) | instid1(VALU_DEP_2)
	v_fmamk_f32 v10, v12, 0xbf5db3d7, v14
	v_dual_fmac_f32 v14, 0x3f5db3d7, v12 :: v_dual_fmac_f32 v1, -0.5, v13
	v_add_f32_e32 v12, v48, v41
	v_add_f32_e32 v16, v0, v48
	v_dual_add_f32 v13, v20, v17 :: v_dual_add_nc_u32 v20, 0x1000, v87
	s_delay_alu instid0(VALU_DEP_4) | instskip(NEXT) | instid1(VALU_DEP_4)
	v_fmamk_f32 v17, v22, 0x3f5db3d7, v1
	v_fma_f32 v0, -0.5, v12, v0
	s_delay_alu instid0(VALU_DEP_4) | instskip(NEXT) | instid1(VALU_DEP_2)
	v_dual_fmac_f32 v1, 0xbf5db3d7, v22 :: v_dual_add_f32 v12, v16, v41
	v_fmamk_f32 v16, v21, 0xbf5db3d7, v0
	v_fmac_f32_e32 v0, 0x3f5db3d7, v21
	ds_store_2addr_b64 v82, v[4:5], v[6:7] offset1:99
	ds_store_2addr_b64 v18, v[2:3], v[8:9] offset0:70 offset1:169
	ds_store_2addr_b64 v19, v[10:11], v[14:15] offset0:140 offset1:239
	;; [unrolled: 1-line block ×3, first 2 shown]
	ds_store_b64 v87, v[0:1] offset:6336
	global_wb scope:SCOPE_SE
	s_wait_dscnt 0x0
	s_barrier_signal -1
	s_barrier_wait -1
	global_inv scope:SCOPE_SE
	ds_load_2addr_b64 v[0:3], v18 offset0:70 offset1:169
	ds_load_2addr_b64 v[4:7], v40 offset0:82 offset1:181
	;; [unrolled: 1-line block ×3, first 2 shown]
	ds_load_b64 v[16:17], v82 offset:6336
	ds_load_2addr_b64 v[12:15], v82 offset1:99
	s_wait_dscnt 0x4
	v_mul_f32_e32 v20, v37, v3
	s_wait_dscnt 0x3
	v_dual_mul_f32 v21, v37, v2 :: v_dual_mul_f32 v22, v39, v5
	s_delay_alu instid0(VALU_DEP_2) | instskip(NEXT) | instid1(VALU_DEP_2)
	v_dual_mul_f32 v23, v35, v7 :: v_dual_fmac_f32 v20, v36, v2
	v_fma_f32 v3, v36, v3, -v21
	s_wait_dscnt 0x2
	s_delay_alu instid0(VALU_DEP_3) | instskip(SKIP_3) | instid1(VALU_DEP_3)
	v_dual_mul_f32 v21, v33, v9 :: v_dual_fmac_f32 v22, v38, v4
	v_mul_f32_e32 v2, v39, v4
	v_dual_mul_f32 v4, v33, v8 :: v_dual_fmac_f32 v23, v34, v6
	s_wait_dscnt 0x1
	v_dual_fmac_f32 v21, v32, v8 :: v_dual_mul_f32 v26, v31, v17
	v_mad_co_u64_u32 v[36:37], null, s6, v60, 0
	s_delay_alu instid0(VALU_DEP_3) | instskip(SKIP_2) | instid1(VALU_DEP_2)
	v_fma_f32 v9, v32, v9, -v4
	v_mul_f32_e32 v4, v29, v10
	v_mul_f32_e32 v24, v29, v11
	v_fma_f32 v27, v28, v11, -v4
	v_sub_f32_e32 v11, v20, v22
	v_fma_f32 v5, v38, v5, -v2
	v_mul_f32_e32 v2, v35, v6
	s_wait_dscnt 0x0
	v_add_f32_e32 v6, v12, v20
	v_mad_co_u64_u32 v[38:39], null, s4, v81, 0
	v_sub_f32_e32 v8, v3, v5
	v_fma_f32 v25, v34, v7, -v2
	v_dual_add_f32 v7, v3, v5 :: v_dual_fmac_f32 v24, v28, v10
	v_add_f32_e32 v10, v13, v3
	s_delay_alu instid0(VALU_DEP_2) | instskip(SKIP_1) | instid1(VALU_DEP_3)
	v_fma_f32 v3, -0.5, v7, v13
	v_dual_sub_f32 v13, v21, v23 :: v_dual_mul_f32 v2, v31, v16
	v_add_f32_e32 v5, v10, v5
	s_delay_alu instid0(VALU_DEP_3) | instskip(SKIP_4) | instid1(VALU_DEP_4)
	v_dual_add_f32 v10, v14, v21 :: v_dual_fmamk_f32 v7, v11, 0x3f5db3d7, v3
	v_dual_add_f32 v4, v20, v22 :: v_dual_fmac_f32 v3, 0xbf5db3d7, v11
	v_add_f32_e32 v11, v9, v25
	v_fma_f32 v17, v30, v17, -v2
	v_fmac_f32_e32 v26, v30, v16
	v_fma_f32 v2, -0.5, v4, v12
	v_sub_f32_e32 v12, v9, v25
	v_add_f32_e32 v9, v15, v9
	v_dual_fmac_f32 v15, -0.5, v11 :: v_dual_sub_f32 v20, v27, v17
	s_delay_alu instid0(VALU_DEP_2) | instskip(NEXT) | instid1(VALU_DEP_2)
	v_add_f32_e32 v9, v9, v25
	v_fmamk_f32 v11, v13, 0x3f5db3d7, v15
	v_fmac_f32_e32 v15, 0xbf5db3d7, v13
	v_dual_add_f32 v13, v27, v17 :: v_dual_add_f32 v4, v6, v22
	v_fmamk_f32 v6, v8, 0xbf5db3d7, v2
	v_fmac_f32_e32 v2, 0x3f5db3d7, v8
	v_add_f32_e32 v8, v21, v23
	v_dual_add_f32 v16, v0, v24 :: v_dual_add_f32 v21, v1, v27
	v_dual_fmac_f32 v1, -0.5, v13 :: v_dual_sub_f32 v22, v24, v26
	s_delay_alu instid0(VALU_DEP_3) | instskip(NEXT) | instid1(VALU_DEP_3)
	v_fma_f32 v14, -0.5, v8, v14
	v_dual_add_f32 v8, v10, v23 :: v_dual_add_f32 v13, v21, v17
	s_delay_alu instid0(VALU_DEP_3) | instskip(NEXT) | instid1(VALU_DEP_3)
	v_fmamk_f32 v17, v22, 0x3f5db3d7, v1
	v_fmamk_f32 v10, v12, 0xbf5db3d7, v14
	v_fmac_f32_e32 v14, 0x3f5db3d7, v12
	v_add_f32_e32 v12, v24, v26
	v_fmac_f32_e32 v1, 0xbf5db3d7, v22
	s_delay_alu instid0(VALU_DEP_2) | instskip(SKIP_1) | instid1(VALU_DEP_2)
	v_fma_f32 v0, -0.5, v12, v0
	v_add_f32_e32 v12, v16, v26
	v_fmamk_f32 v16, v20, 0xbf5db3d7, v0
	v_fmac_f32_e32 v0, 0x3f5db3d7, v20
	ds_store_b64 v82, v[6:7] offset:2376
	ds_store_b64 v82, v[2:3] offset:4752
	ds_store_2addr_b64 v82, v[4:5], v[8:9] offset1:99
	ds_store_b64 v88, v[10:11] offset:3168
	ds_store_b64 v88, v[14:15] offset:5544
	;; [unrolled: 1-line block ×5, first 2 shown]
	global_wb scope:SCOPE_SE
	s_wait_dscnt 0x0
	s_barrier_signal -1
	s_barrier_wait -1
	global_inv scope:SCOPE_SE
	ds_load_2addr_b64 v[0:3], v82 offset1:99
	ds_load_2addr_b64 v[4:7], v18 offset0:70 offset1:169
	s_wait_dscnt 0x1
	v_mul_f32_e32 v8, v78, v1
	v_dual_mul_f32 v9, v78, v0 :: v_dual_mul_f32 v12, v68, v3
	s_wait_dscnt 0x0
	v_mul_f32_e32 v20, v70, v5
	v_mul_f32_e32 v21, v70, v4
	v_fmac_f32_e32 v8, v77, v0
	v_fma_f32 v13, v77, v1, -v9
	v_fmac_f32_e32 v12, v67, v2
	v_mul_f32_e32 v22, v72, v7
	v_mul_f32_e32 v23, v72, v6
	v_cvt_f64_f32_e32 v[0:1], v8
	ds_load_2addr_b64 v[8:11], v19 offset0:140 offset1:239
	v_cvt_f64_f32_e32 v[16:17], v13
	v_cvt_f64_f32_e32 v[18:19], v12
	ds_load_2addr_b64 v[12:15], v40 offset0:82 offset1:181
	v_fmac_f32_e32 v20, v69, v4
	v_fma_f32 v21, v69, v5, -v21
	v_fmac_f32_e32 v22, v71, v6
	v_fma_f32 v24, v71, v7, -v23
	v_mul_f32_e32 v2, v68, v2
	v_cvt_f64_f32_e32 v[4:5], v20
	v_cvt_f64_f32_e32 v[6:7], v21
	;; [unrolled: 1-line block ×3, first 2 shown]
	ds_load_b64 v[22:23], v82 offset:6336
	v_fma_f32 v2, v67, v3, -v2
	v_cvt_f64_f32_e32 v[24:25], v24
	v_mad_co_u64_u32 v[40:41], null, s7, v60, v[37:38]
	s_delay_alu instid0(VALU_DEP_3)
	v_cvt_f64_f32_e32 v[2:3], v2
	s_wait_dscnt 0x2
	v_mul_f32_e32 v29, v66, v10
	v_mul_f32_e32 v26, v62, v9
	s_wait_dscnt 0x1
	v_dual_mul_f32 v27, v62, v8 :: v_dual_mul_f32 v30, v64, v13
	v_mul_f32_e32 v28, v66, v11
	v_mul_f32_e32 v32, v74, v15
	v_dual_mul_f32 v33, v74, v14 :: v_dual_fmac_f32 v26, v61, v8
	s_delay_alu instid0(VALU_DEP_4)
	v_fmac_f32_e32 v30, v63, v12
	v_mul_f32_e32 v12, v64, v12
	v_fma_f32 v27, v61, v9, -v27
	v_fmac_f32_e32 v28, v65, v10
	s_wait_dscnt 0x0
	v_mul_f32_e32 v34, v76, v23
	v_mul_f32_e32 v35, v76, v22
	v_fma_f32 v29, v65, v11, -v29
	v_fma_f32 v12, v63, v13, -v12
	v_fmac_f32_e32 v32, v73, v14
	v_fma_f32 v33, v73, v15, -v33
	v_fmac_f32_e32 v34, v75, v22
	v_fma_f32 v35, v75, v23, -v35
	v_cvt_f64_f32_e32 v[8:9], v26
	v_cvt_f64_f32_e32 v[10:11], v27
	;; [unrolled: 1-line block ×10, first 2 shown]
	s_wait_alu 0xfffe
	v_mul_f64_e32 v[0:1], s[2:3], v[0:1]
	v_mul_f64_e32 v[16:17], s[2:3], v[16:17]
	;; [unrolled: 1-line block ×8, first 2 shown]
	v_mov_b32_e32 v37, v40
	v_mad_co_u64_u32 v[39:40], null, s5, v81, v[39:40]
	s_delay_alu instid0(VALU_DEP_2) | instskip(NEXT) | instid1(VALU_DEP_2)
	v_lshlrev_b64_e32 v[36:37], 3, v[36:37]
	v_lshlrev_b64_e32 v[38:39], 3, v[38:39]
	s_delay_alu instid0(VALU_DEP_2) | instskip(SKIP_1) | instid1(VALU_DEP_3)
	v_add_co_u32 v36, vcc_lo, s0, v36
	s_wait_alu 0xfffd
	v_add_co_ci_u32_e32 v37, vcc_lo, s1, v37, vcc_lo
	s_mul_u64 s[0:1], s[4:5], 0x318
	v_mul_f64_e32 v[8:9], s[2:3], v[8:9]
	v_mul_f64_e32 v[10:11], s[2:3], v[10:11]
	;; [unrolled: 1-line block ×10, first 2 shown]
	v_cvt_f32_f64_e32 v0, v[0:1]
	v_cvt_f32_f64_e32 v1, v[16:17]
	;; [unrolled: 1-line block ×3, first 2 shown]
	v_add_co_u32 v16, vcc_lo, v36, v38
	s_wait_alu 0xfffd
	v_add_co_ci_u32_e32 v17, vcc_lo, v37, v39, vcc_lo
	v_cvt_f32_f64_e32 v19, v[2:3]
	v_cvt_f32_f64_e32 v2, v[4:5]
	;; [unrolled: 1-line block ×5, first 2 shown]
	s_wait_alu 0xfffe
	v_add_co_u32 v4, vcc_lo, v16, s0
	s_wait_alu 0xfffd
	v_add_co_ci_u32_e32 v5, vcc_lo, s1, v17, vcc_lo
	v_cvt_f32_f64_e32 v8, v[8:9]
	v_cvt_f32_f64_e32 v9, v[10:11]
	;; [unrolled: 1-line block ×10, first 2 shown]
	v_add_co_u32 v22, vcc_lo, v4, s0
	s_wait_alu 0xfffd
	v_add_co_ci_u32_e32 v23, vcc_lo, s1, v5, vcc_lo
	global_store_b64 v[16:17], v[0:1], off
	v_add_co_u32 v24, vcc_lo, v22, s0
	s_wait_alu 0xfffd
	v_add_co_ci_u32_e32 v25, vcc_lo, s1, v23, vcc_lo
	global_store_b64 v[4:5], v[18:19], off
	;; [unrolled: 4-line block ×4, first 2 shown]
	v_add_co_u32 v4, vcc_lo, v0, s0
	s_wait_alu 0xfffd
	v_add_co_ci_u32_e32 v5, vcc_lo, s1, v1, vcc_lo
	s_delay_alu instid0(VALU_DEP_2) | instskip(SKIP_1) | instid1(VALU_DEP_2)
	v_add_co_u32 v2, vcc_lo, v4, s0
	s_wait_alu 0xfffd
	v_add_co_ci_u32_e32 v3, vcc_lo, s1, v5, vcc_lo
	s_delay_alu instid0(VALU_DEP_2) | instskip(SKIP_1) | instid1(VALU_DEP_2)
	v_add_co_u32 v6, vcc_lo, v2, s0
	s_wait_alu 0xfffd
	v_add_co_ci_u32_e32 v7, vcc_lo, s1, v3, vcc_lo
	global_store_b64 v[26:27], v[8:9], off
	global_store_b64 v[0:1], v[10:11], off
	;; [unrolled: 1-line block ×5, first 2 shown]
.LBB0_10:
	s_nop 0
	s_sendmsg sendmsg(MSG_DEALLOC_VGPRS)
	s_endpgm
	.section	.rodata,"a",@progbits
	.p2align	6, 0x0
	.amdhsa_kernel bluestein_single_fwd_len891_dim1_sp_op_CI_CI
		.amdhsa_group_segment_fixed_size 14256
		.amdhsa_private_segment_fixed_size 0
		.amdhsa_kernarg_size 104
		.amdhsa_user_sgpr_count 2
		.amdhsa_user_sgpr_dispatch_ptr 0
		.amdhsa_user_sgpr_queue_ptr 0
		.amdhsa_user_sgpr_kernarg_segment_ptr 1
		.amdhsa_user_sgpr_dispatch_id 0
		.amdhsa_user_sgpr_private_segment_size 0
		.amdhsa_wavefront_size32 1
		.amdhsa_uses_dynamic_stack 0
		.amdhsa_enable_private_segment 0
		.amdhsa_system_sgpr_workgroup_id_x 1
		.amdhsa_system_sgpr_workgroup_id_y 0
		.amdhsa_system_sgpr_workgroup_id_z 0
		.amdhsa_system_sgpr_workgroup_info 0
		.amdhsa_system_vgpr_workitem_id 0
		.amdhsa_next_free_vgpr 157
		.amdhsa_next_free_sgpr 20
		.amdhsa_reserve_vcc 1
		.amdhsa_float_round_mode_32 0
		.amdhsa_float_round_mode_16_64 0
		.amdhsa_float_denorm_mode_32 3
		.amdhsa_float_denorm_mode_16_64 3
		.amdhsa_fp16_overflow 0
		.amdhsa_workgroup_processor_mode 1
		.amdhsa_memory_ordered 1
		.amdhsa_forward_progress 0
		.amdhsa_round_robin_scheduling 0
		.amdhsa_exception_fp_ieee_invalid_op 0
		.amdhsa_exception_fp_denorm_src 0
		.amdhsa_exception_fp_ieee_div_zero 0
		.amdhsa_exception_fp_ieee_overflow 0
		.amdhsa_exception_fp_ieee_underflow 0
		.amdhsa_exception_fp_ieee_inexact 0
		.amdhsa_exception_int_div_zero 0
	.end_amdhsa_kernel
	.text
.Lfunc_end0:
	.size	bluestein_single_fwd_len891_dim1_sp_op_CI_CI, .Lfunc_end0-bluestein_single_fwd_len891_dim1_sp_op_CI_CI
                                        ; -- End function
	.section	.AMDGPU.csdata,"",@progbits
; Kernel info:
; codeLenInByte = 11500
; NumSgprs: 22
; NumVgprs: 157
; ScratchSize: 0
; MemoryBound: 0
; FloatMode: 240
; IeeeMode: 1
; LDSByteSize: 14256 bytes/workgroup (compile time only)
; SGPRBlocks: 2
; VGPRBlocks: 19
; NumSGPRsForWavesPerEU: 22
; NumVGPRsForWavesPerEU: 157
; Occupancy: 9
; WaveLimiterHint : 1
; COMPUTE_PGM_RSRC2:SCRATCH_EN: 0
; COMPUTE_PGM_RSRC2:USER_SGPR: 2
; COMPUTE_PGM_RSRC2:TRAP_HANDLER: 0
; COMPUTE_PGM_RSRC2:TGID_X_EN: 1
; COMPUTE_PGM_RSRC2:TGID_Y_EN: 0
; COMPUTE_PGM_RSRC2:TGID_Z_EN: 0
; COMPUTE_PGM_RSRC2:TIDIG_COMP_CNT: 0
	.text
	.p2alignl 7, 3214868480
	.fill 96, 4, 3214868480
	.type	__hip_cuid_c90ba423ec32b3b7,@object ; @__hip_cuid_c90ba423ec32b3b7
	.section	.bss,"aw",@nobits
	.globl	__hip_cuid_c90ba423ec32b3b7
__hip_cuid_c90ba423ec32b3b7:
	.byte	0                               ; 0x0
	.size	__hip_cuid_c90ba423ec32b3b7, 1

	.ident	"AMD clang version 19.0.0git (https://github.com/RadeonOpenCompute/llvm-project roc-6.4.0 25133 c7fe45cf4b819c5991fe208aaa96edf142730f1d)"
	.section	".note.GNU-stack","",@progbits
	.addrsig
	.addrsig_sym __hip_cuid_c90ba423ec32b3b7
	.amdgpu_metadata
---
amdhsa.kernels:
  - .args:
      - .actual_access:  read_only
        .address_space:  global
        .offset:         0
        .size:           8
        .value_kind:     global_buffer
      - .actual_access:  read_only
        .address_space:  global
        .offset:         8
        .size:           8
        .value_kind:     global_buffer
      - .actual_access:  read_only
        .address_space:  global
        .offset:         16
        .size:           8
        .value_kind:     global_buffer
      - .actual_access:  read_only
        .address_space:  global
        .offset:         24
        .size:           8
        .value_kind:     global_buffer
      - .actual_access:  read_only
        .address_space:  global
        .offset:         32
        .size:           8
        .value_kind:     global_buffer
      - .offset:         40
        .size:           8
        .value_kind:     by_value
      - .address_space:  global
        .offset:         48
        .size:           8
        .value_kind:     global_buffer
      - .address_space:  global
        .offset:         56
        .size:           8
        .value_kind:     global_buffer
      - .address_space:  global
        .offset:         64
        .size:           8
        .value_kind:     global_buffer
      - .address_space:  global
        .offset:         72
        .size:           8
        .value_kind:     global_buffer
      - .offset:         80
        .size:           4
        .value_kind:     by_value
      - .address_space:  global
        .offset:         88
        .size:           8
        .value_kind:     global_buffer
      - .address_space:  global
        .offset:         96
        .size:           8
        .value_kind:     global_buffer
    .group_segment_fixed_size: 14256
    .kernarg_segment_align: 8
    .kernarg_segment_size: 104
    .language:       OpenCL C
    .language_version:
      - 2
      - 0
    .max_flat_workgroup_size: 198
    .name:           bluestein_single_fwd_len891_dim1_sp_op_CI_CI
    .private_segment_fixed_size: 0
    .sgpr_count:     22
    .sgpr_spill_count: 0
    .symbol:         bluestein_single_fwd_len891_dim1_sp_op_CI_CI.kd
    .uniform_work_group_size: 1
    .uses_dynamic_stack: false
    .vgpr_count:     157
    .vgpr_spill_count: 0
    .wavefront_size: 32
    .workgroup_processor_mode: 1
amdhsa.target:   amdgcn-amd-amdhsa--gfx1201
amdhsa.version:
  - 1
  - 2
...

	.end_amdgpu_metadata
